;; amdgpu-corpus repo=ROCm/rocFFT kind=compiled arch=gfx906 opt=O3
	.text
	.amdgcn_target "amdgcn-amd-amdhsa--gfx906"
	.amdhsa_code_object_version 6
	.protected	bluestein_single_back_len765_dim1_sp_op_CI_CI ; -- Begin function bluestein_single_back_len765_dim1_sp_op_CI_CI
	.globl	bluestein_single_back_len765_dim1_sp_op_CI_CI
	.p2align	8
	.type	bluestein_single_back_len765_dim1_sp_op_CI_CI,@function
bluestein_single_back_len765_dim1_sp_op_CI_CI: ; @bluestein_single_back_len765_dim1_sp_op_CI_CI
; %bb.0:
	s_mov_b64 s[22:23], s[2:3]
	v_mul_u32_u24_e32 v1, 0x506, v0
	s_mov_b64 s[20:21], s[0:1]
	s_load_dwordx4 s[0:3], s[4:5], 0x28
	v_lshrrev_b32_e32 v1, 16, v1
	s_add_u32 s20, s20, s7
	v_mad_u64_u32 v[88:89], s[6:7], s6, 5, v[1:2]
	v_mov_b32_e32 v89, 0
	s_addc_u32 s21, s21, 0
	s_waitcnt lgkmcnt(0)
	v_cmp_gt_u64_e32 vcc, s[0:1], v[88:89]
	s_and_saveexec_b64 s[0:1], vcc
	s_cbranch_execz .LBB0_15
; %bb.1:
	s_mov_b32 s0, 0xcccccccd
	v_mul_hi_u32 v2, v88, s0
	v_mul_lo_u16_e32 v1, 51, v1
	s_load_dwordx2 s[8:9], s[4:5], 0x0
	s_load_dwordx2 s[10:11], s[4:5], 0x38
	v_sub_u16_e32 v105, v0, v1
	v_lshrrev_b32_e32 v0, 2, v2
	v_lshl_add_u32 v0, v0, 2, v0
	v_sub_u32_e32 v0, v88, v0
	v_mul_u32_u24_e32 v104, 0x2fd, v0
	v_cmp_gt_u16_e64 s[0:1], 45, v105
	v_lshlrev_b32_e32 v103, 3, v105
	v_lshlrev_b32_e32 v106, 3, v104
	s_and_saveexec_b64 s[6:7], s[0:1]
	s_cbranch_execz .LBB0_3
; %bb.2:
	s_load_dwordx2 s[12:13], s[4:5], 0x18
	s_waitcnt lgkmcnt(0)
	s_load_dwordx4 s[12:15], s[12:13], 0x0
	s_waitcnt lgkmcnt(0)
	v_mad_u64_u32 v[0:1], s[16:17], s14, v88, 0
	v_mad_u64_u32 v[2:3], s[16:17], s12, v105, 0
	;; [unrolled: 1-line block ×4, first 2 shown]
	v_mov_b32_e32 v1, v4
	v_lshlrev_b64 v[0:1], 3, v[0:1]
	v_mov_b32_e32 v3, v5
	v_mov_b32_e32 v6, s3
	v_lshlrev_b64 v[2:3], 3, v[2:3]
	v_add_co_u32_e32 v0, vcc, s2, v0
	v_addc_co_u32_e32 v1, vcc, v6, v1, vcc
	v_add_co_u32_e32 v0, vcc, v0, v2
	v_addc_co_u32_e32 v1, vcc, v1, v3, vcc
	v_mov_b32_e32 v2, s9
	v_add_co_u32_e32 v52, vcc, s8, v103
	s_mul_i32 s2, s13, 0x168
	s_mul_hi_u32 s3, s12, 0x168
	v_addc_co_u32_e32 v53, vcc, 0, v2, vcc
	s_add_i32 s2, s3, s2
	s_mul_i32 s3, s12, 0x168
	v_mov_b32_e32 v3, s2
	v_add_co_u32_e32 v2, vcc, s3, v0
	v_addc_co_u32_e32 v3, vcc, v1, v3, vcc
	v_mov_b32_e32 v5, s2
	v_add_co_u32_e32 v4, vcc, s3, v2
	v_addc_co_u32_e32 v5, vcc, v3, v5, vcc
	v_mov_b32_e32 v7, s2
	v_add_co_u32_e32 v6, vcc, s3, v4
	v_addc_co_u32_e32 v7, vcc, v5, v7, vcc
	global_load_dwordx2 v[8:9], v[0:1], off
	global_load_dwordx2 v[10:11], v[2:3], off
	global_load_dwordx2 v[12:13], v[4:5], off
	global_load_dwordx2 v[14:15], v[6:7], off
	global_load_dwordx2 v[16:17], v103, s[8:9]
	global_load_dwordx2 v[18:19], v103, s[8:9] offset:360
	global_load_dwordx2 v[20:21], v103, s[8:9] offset:720
	;; [unrolled: 1-line block ×3, first 2 shown]
	v_mov_b32_e32 v1, s2
	v_add_co_u32_e32 v0, vcc, s3, v6
	v_addc_co_u32_e32 v1, vcc, v7, v1, vcc
	global_load_dwordx2 v[2:3], v[0:1], off
	v_mov_b32_e32 v4, s2
	v_add_co_u32_e32 v0, vcc, s3, v0
	v_addc_co_u32_e32 v1, vcc, v1, v4, vcc
	global_load_dwordx2 v[4:5], v[0:1], off
	v_mov_b32_e32 v6, s2
	v_add_co_u32_e32 v0, vcc, s3, v0
	v_addc_co_u32_e32 v1, vcc, v1, v6, vcc
	global_load_dwordx2 v[6:7], v[0:1], off
	v_mov_b32_e32 v24, s2
	v_add_co_u32_e32 v0, vcc, s3, v0
	v_addc_co_u32_e32 v1, vcc, v1, v24, vcc
	global_load_dwordx2 v[24:25], v[0:1], off
	global_load_dwordx2 v[26:27], v103, s[8:9] offset:1440
	global_load_dwordx2 v[28:29], v103, s[8:9] offset:1800
	;; [unrolled: 1-line block ×4, first 2 shown]
	v_mov_b32_e32 v34, s2
	v_add_co_u32_e32 v0, vcc, s3, v0
	v_addc_co_u32_e32 v1, vcc, v1, v34, vcc
	global_load_dwordx2 v[34:35], v[0:1], off
	v_mov_b32_e32 v36, s2
	v_add_co_u32_e32 v0, vcc, s3, v0
	v_addc_co_u32_e32 v1, vcc, v1, v36, vcc
	global_load_dwordx2 v[36:37], v[0:1], off
	;; [unrolled: 4-line block ×4, first 2 shown]
	global_load_dwordx2 v[42:43], v103, s[8:9] offset:2880
	global_load_dwordx2 v[44:45], v103, s[8:9] offset:3240
	;; [unrolled: 1-line block ×4, first 2 shown]
	v_mov_b32_e32 v50, s2
	v_add_co_u32_e32 v0, vcc, s3, v0
	v_addc_co_u32_e32 v1, vcc, v1, v50, vcc
	s_movk_i32 s12, 0x1000
	v_add_co_u32_e32 v52, vcc, s12, v52
	v_addc_co_u32_e32 v53, vcc, 0, v53, vcc
	global_load_dwordx2 v[50:51], v[0:1], off
	v_mov_b32_e32 v56, s2
	v_add_co_u32_e32 v0, vcc, s3, v0
	v_addc_co_u32_e32 v1, vcc, v1, v56, vcc
	global_load_dwordx2 v[56:57], v[0:1], off
	v_mov_b32_e32 v58, s2
	v_add_co_u32_e32 v0, vcc, s3, v0
	v_addc_co_u32_e32 v1, vcc, v1, v58, vcc
	global_load_dwordx2 v[54:55], v[52:53], off offset:224
	global_load_dwordx2 v[58:59], v[0:1], off
	global_load_dwordx2 v[60:61], v[52:53], off offset:584
	global_load_dwordx2 v[62:63], v[52:53], off offset:944
	v_mov_b32_e32 v64, s2
	v_add_co_u32_e32 v0, vcc, s3, v0
	v_addc_co_u32_e32 v1, vcc, v1, v64, vcc
	global_load_dwordx2 v[64:65], v[0:1], off
	global_load_dwordx2 v[66:67], v[52:53], off offset:1304
	v_mov_b32_e32 v68, s2
	v_add_co_u32_e32 v0, vcc, s3, v0
	v_addc_co_u32_e32 v1, vcc, v1, v68, vcc
	global_load_dwordx2 v[68:69], v[0:1], off
	global_load_dwordx2 v[70:71], v[52:53], off offset:1664
	s_waitcnt vmcnt(29)
	v_mul_f32_e32 v0, v9, v17
	v_mul_f32_e32 v1, v8, v17
	v_fmac_f32_e32 v0, v8, v16
	v_lshl_add_u32 v52, v105, 3, v106
	v_fma_f32 v1, v9, v16, -v1
	ds_write_b64 v52, v[0:1]
	s_waitcnt vmcnt(28)
	v_mul_f32_e32 v0, v11, v19
	v_mul_f32_e32 v1, v10, v19
	s_waitcnt vmcnt(27)
	v_mul_f32_e32 v8, v13, v21
	v_mul_f32_e32 v9, v12, v21
	v_fmac_f32_e32 v0, v10, v18
	v_add_u32_e32 v16, v106, v103
	v_fma_f32 v1, v11, v18, -v1
	v_fmac_f32_e32 v8, v12, v20
	v_fma_f32 v9, v13, v20, -v9
	ds_write2_b64 v16, v[0:1], v[8:9] offset0:45 offset1:90
	s_waitcnt vmcnt(21)
	v_mul_f32_e32 v8, v3, v27
	v_mul_f32_e32 v0, v15, v23
	v_mul_f32_e32 v1, v14, v23
	v_fmac_f32_e32 v8, v2, v26
	v_mul_f32_e32 v2, v2, v27
	v_fmac_f32_e32 v0, v14, v22
	v_fma_f32 v1, v15, v22, -v1
	v_fma_f32 v9, v3, v26, -v2
	ds_write2_b64 v16, v[0:1], v[8:9] offset0:135 offset1:180
	s_waitcnt vmcnt(20)
	v_mul_f32_e32 v0, v5, v29
	v_mul_f32_e32 v1, v4, v29
	s_waitcnt vmcnt(19)
	v_mul_f32_e32 v2, v7, v31
	v_mul_f32_e32 v3, v6, v31
	v_fmac_f32_e32 v0, v4, v28
	v_fma_f32 v1, v5, v28, -v1
	v_fmac_f32_e32 v2, v6, v30
	v_fma_f32 v3, v7, v30, -v3
	v_add_u32_e32 v4, 0x400, v16
	ds_write2_b64 v4, v[0:1], v[2:3] offset0:97 offset1:142
	s_waitcnt vmcnt(18)
	v_mul_f32_e32 v0, v25, v33
	v_mul_f32_e32 v1, v24, v33
	v_fmac_f32_e32 v0, v24, v32
	v_fma_f32 v1, v25, v32, -v1
	v_add_u32_e32 v4, 0x800, v16
	s_waitcnt vmcnt(13)
	v_mul_f32_e32 v2, v35, v43
	v_mul_f32_e32 v3, v34, v43
	v_fmac_f32_e32 v2, v34, v42
	v_fma_f32 v3, v35, v42, -v3
	ds_write2_b64 v4, v[0:1], v[2:3] offset0:59 offset1:104
	s_waitcnt vmcnt(12)
	v_mul_f32_e32 v0, v37, v45
	v_mul_f32_e32 v1, v36, v45
	s_waitcnt vmcnt(11)
	v_mul_f32_e32 v2, v39, v47
	v_mul_f32_e32 v3, v38, v47
	v_fmac_f32_e32 v0, v36, v44
	v_fma_f32 v1, v37, v44, -v1
	v_fmac_f32_e32 v2, v38, v46
	v_fma_f32 v3, v39, v46, -v3
	ds_write2_b64 v4, v[0:1], v[2:3] offset0:149 offset1:194
	s_waitcnt vmcnt(10)
	v_mul_f32_e32 v0, v41, v49
	v_mul_f32_e32 v1, v40, v49
	v_fmac_f32_e32 v0, v40, v48
	v_fma_f32 v1, v41, v48, -v1
	v_add_u32_e32 v4, 0xc00, v16
	s_waitcnt vmcnt(7)
	v_mul_f32_e32 v2, v51, v55
	v_mul_f32_e32 v3, v50, v55
	v_fmac_f32_e32 v2, v50, v54
	v_fma_f32 v3, v51, v54, -v3
	ds_write2_b64 v4, v[0:1], v[2:3] offset0:111 offset1:156
	s_waitcnt vmcnt(5)
	v_mul_f32_e32 v0, v57, v61
	v_mul_f32_e32 v1, v56, v61
	s_waitcnt vmcnt(4)
	v_mul_f32_e32 v2, v59, v63
	v_mul_f32_e32 v3, v58, v63
	v_fmac_f32_e32 v0, v56, v60
	v_fma_f32 v1, v57, v60, -v1
	v_fmac_f32_e32 v2, v58, v62
	v_fma_f32 v3, v59, v62, -v3
	v_add_u32_e32 v4, 0x1000, v16
	ds_write2_b64 v4, v[0:1], v[2:3] offset0:73 offset1:118
	s_waitcnt vmcnt(2)
	v_mul_f32_e32 v0, v65, v67
	v_mul_f32_e32 v1, v64, v67
	s_waitcnt vmcnt(0)
	v_mul_f32_e32 v2, v69, v71
	v_mul_f32_e32 v3, v68, v71
	v_fmac_f32_e32 v0, v64, v66
	v_fma_f32 v1, v65, v66, -v1
	v_fmac_f32_e32 v2, v68, v70
	v_fma_f32 v3, v69, v70, -v3
	ds_write2_b64 v4, v[0:1], v[2:3] offset0:163 offset1:208
.LBB0_3:
	s_or_b64 exec, exec, s[6:7]
	s_load_dwordx2 s[6:7], s[4:5], 0x20
	s_load_dwordx2 s[2:3], s[4:5], 0x8
	v_mov_b32_e32 v0, 0
	v_mov_b32_e32 v1, 0
	s_waitcnt lgkmcnt(0)
	s_barrier
	s_waitcnt lgkmcnt(0)
                                        ; implicit-def: $vgpr18
                                        ; implicit-def: $vgpr12
                                        ; implicit-def: $vgpr8
                                        ; implicit-def: $vgpr4
                                        ; implicit-def: $vgpr32
                                        ; implicit-def: $vgpr22
                                        ; implicit-def: $vgpr26
                                        ; implicit-def: $vgpr30
	s_and_saveexec_b64 s[4:5], s[0:1]
	s_cbranch_execz .LBB0_5
; %bb.4:
	v_lshl_add_u32 v32, v104, 3, v103
	v_add_u32_e32 v4, 0x800, v32
	ds_read2_b64 v[0:3], v32 offset1:45
	ds_read2_b64 v[28:31], v32 offset0:90 offset1:135
	ds_read2_b64 v[24:27], v32 offset0:180 offset1:225
	;; [unrolled: 1-line block ×5, first 2 shown]
	v_add_u32_e32 v4, 0x1000, v32
	ds_read2_b64 v[8:11], v4 offset0:28 offset1:73
	ds_read2_b64 v[4:7], v4 offset0:118 offset1:163
	ds_read_b64 v[32:33], v32 offset:5760
.LBB0_5:
	s_or_b64 exec, exec, s[4:5]
	s_waitcnt lgkmcnt(0)
	v_sub_f32_e32 v67, v3, v33
	v_mul_f32_e32 v50, 0xbeb8f4ab, v67
	v_add_f32_e32 v34, v32, v2
	v_sub_f32_e32 v75, v2, v32
	v_mov_b32_e32 v35, v50
	v_add_f32_e32 v36, v33, v3
	s_mov_b32 s12, 0x3f6eb680
	v_mul_f32_e32 v52, 0xbeb8f4ab, v75
	v_fmac_f32_e32 v35, 0x3f6eb680, v34
	v_add_f32_e32 v37, v35, v0
	v_fma_f32 v35, v36, s12, -v52
	v_mul_f32_e32 v56, 0xbf2c7751, v67
	v_add_f32_e32 v39, v35, v1
	v_mov_b32_e32 v35, v56
	s_mov_b32 s13, 0x3f3d2fb0
	v_mul_f32_e32 v61, 0xbf2c7751, v75
	v_fmac_f32_e32 v35, 0x3f3d2fb0, v34
	v_sub_f32_e32 v72, v29, v7
	v_add_f32_e32 v40, v35, v0
	v_fma_f32 v35, v36, s13, -v61
	v_mul_f32_e32 v51, 0xbf2c7751, v72
	v_add_f32_e32 v41, v35, v1
	v_add_f32_e32 v35, v6, v28
	v_sub_f32_e32 v80, v28, v6
	v_mov_b32_e32 v42, v51
	v_add_f32_e32 v38, v7, v29
	v_mul_f32_e32 v54, 0xbf2c7751, v80
	v_fmac_f32_e32 v42, 0x3f3d2fb0, v35
	v_add_f32_e32 v42, v42, v37
	v_fma_f32 v37, v38, s13, -v54
	v_mul_f32_e32 v59, 0xbf7ee86f, v72
	v_add_f32_e32 v39, v37, v39
	v_mov_b32_e32 v37, v59
	s_mov_b32 s14, 0x3dbcf732
	v_mul_f32_e32 v65, 0xbf7ee86f, v80
	v_fmac_f32_e32 v37, 0x3dbcf732, v35
	v_sub_f32_e32 v77, v31, v5
	v_add_f32_e32 v43, v37, v40
	v_fma_f32 v37, v38, s14, -v65
	v_mul_f32_e32 v53, 0xbf65296c, v77
	v_add_f32_e32 v41, v37, v41
	v_add_f32_e32 v37, v4, v30
	v_sub_f32_e32 v85, v30, v4
	v_mov_b32_e32 v44, v53
	v_add_f32_e32 v40, v5, v31
	s_mov_b32 s15, 0x3ee437d1
	v_mul_f32_e32 v57, 0xbf65296c, v85
	v_fmac_f32_e32 v44, 0x3ee437d1, v37
	v_add_f32_e32 v44, v44, v42
	v_fma_f32 v42, v40, s15, -v57
	v_mul_f32_e32 v63, 0xbf4c4adb, v77
	v_add_f32_e32 v45, v42, v39
	v_mov_b32_e32 v39, v63
	s_mov_b32 s16, 0xbf1a4643
	v_mul_f32_e32 v71, 0xbf4c4adb, v85
	v_fmac_f32_e32 v39, 0xbf1a4643, v37
	v_sub_f32_e32 v82, v25, v11
	v_add_f32_e32 v43, v39, v43
	v_fma_f32 v39, v40, s16, -v71
	v_mul_f32_e32 v55, 0xbf7ee86f, v82
	v_add_f32_e32 v41, v39, v41
	v_add_f32_e32 v39, v10, v24
	v_sub_f32_e32 v98, v24, v10
	v_mov_b32_e32 v46, v55
	v_add_f32_e32 v42, v11, v25
	v_mul_f32_e32 v60, 0xbf7ee86f, v98
	v_fmac_f32_e32 v46, 0x3dbcf732, v39
	v_add_f32_e32 v46, v46, v44
	v_fma_f32 v44, v42, s14, -v60
	v_mul_f32_e32 v68, 0xbe3c28d5, v82
	v_add_f32_e32 v45, v44, v45
	v_mov_b32_e32 v44, v68
	s_mov_b32 s17, 0xbf7ba420
	v_mul_f32_e32 v76, 0xbe3c28d5, v98
	v_fmac_f32_e32 v44, 0xbf7ba420, v39
	v_sub_f32_e32 v87, v27, v9
	v_add_f32_e32 v43, v44, v43
	v_fma_f32 v44, v42, s17, -v76
	v_mul_f32_e32 v58, 0xbf763a35, v87
	v_add_f32_e32 v47, v44, v41
	v_add_f32_e32 v41, v8, v26
	v_sub_f32_e32 v109, v26, v8
	v_mov_b32_e32 v48, v58
	v_add_f32_e32 v44, v9, v27
	s_mov_b32 s18, 0xbe8c1d8e
	v_mul_f32_e32 v64, 0xbf763a35, v109
	v_fmac_f32_e32 v48, 0xbe8c1d8e, v41
	v_add_f32_e32 v48, v48, v46
	v_fma_f32 v46, v44, s18, -v64
	v_mul_f32_e32 v74, 0x3f06c442, v87
	v_add_f32_e32 v45, v46, v45
	v_mov_b32_e32 v46, v74
	s_mov_b32 s19, 0xbf59a7d5
	v_mul_f32_e32 v81, 0x3f06c442, v109
	v_fmac_f32_e32 v46, 0xbf59a7d5, v41
	v_sub_f32_e32 v108, v21, v15
	v_add_f32_e32 v49, v46, v43
	v_fma_f32 v43, v44, s19, -v81
	v_mul_f32_e32 v62, 0xbf4c4adb, v108
	v_add_f32_e32 v47, v43, v47
	v_add_f32_e32 v43, v14, v20
	v_sub_f32_e32 v112, v20, v14
	v_mov_b32_e32 v66, v62
	v_add_f32_e32 v46, v15, v21
	v_mul_f32_e32 v69, 0xbf4c4adb, v112
	v_fmac_f32_e32 v66, 0xbf1a4643, v43
	v_add_f32_e32 v70, v66, v48
	v_fma_f32 v48, v46, s16, -v69
	v_mul_f32_e32 v79, 0x3f763a35, v108
	v_add_f32_e32 v78, v48, v45
	v_mov_b32_e32 v45, v79
	v_mul_f32_e32 v86, 0x3f763a35, v112
	v_fmac_f32_e32 v45, 0xbe8c1d8e, v43
	v_sub_f32_e32 v111, v23, v13
	v_add_f32_e32 v49, v45, v49
	v_fma_f32 v45, v46, s18, -v86
	v_mul_f32_e32 v66, 0xbf06c442, v111
	v_add_f32_e32 v47, v45, v47
	v_add_f32_e32 v45, v12, v22
	v_sub_f32_e32 v115, v22, v12
	v_mov_b32_e32 v83, v66
	v_add_f32_e32 v48, v13, v23
	v_mul_f32_e32 v73, 0xbf06c442, v115
	v_fmac_f32_e32 v83, 0xbf59a7d5, v45
	v_add_f32_e32 v84, v83, v70
	v_fma_f32 v70, v48, s19, -v73
	v_mul_f32_e32 v83, 0x3f65296c, v111
	v_add_f32_e32 v90, v70, v78
	v_mov_b32_e32 v70, v83
	;; [unrolled: 18-line block ×3, first 2 shown]
	v_mul_f32_e32 v110, 0x3eb8f4ab, v114
	v_fmac_f32_e32 v84, 0x3f6eb680, v47
	v_add_f32_e32 v91, v84, v91
	v_fma_f32 v84, v49, s12, -v110
	v_add_f32_e32 v92, v84, v92
	s_barrier
	s_and_saveexec_b64 s[4:5], s[0:1]
	s_cbranch_execz .LBB0_7
; %bb.6:
	v_mul_f32_e32 v93, 0xbe3c28d5, v75
	v_mov_b32_e32 v84, v93
	v_mul_f32_e32 v94, 0x3eb8f4ab, v80
	v_fmac_f32_e32 v84, 0xbf7ba420, v36
	v_mov_b32_e32 v96, v94
	v_add_f32_e32 v84, v84, v1
	v_fmac_f32_e32 v96, 0x3f6eb680, v38
	v_add_f32_e32 v84, v96, v84
	v_mul_f32_e32 v96, 0xbf06c442, v85
	v_mov_b32_e32 v97, v96
	v_fmac_f32_e32 v97, 0xbf59a7d5, v40
	v_add_f32_e32 v84, v97, v84
	v_mul_f32_e32 v97, 0x3f2c7751, v98
	v_mov_b32_e32 v99, v97
	;; [unrolled: 4-line block ×5, first 2 shown]
	v_fmac_f32_e32 v107, 0xbe8c1d8e, v48
	v_add_f32_e32 v116, v107, v84
	v_mul_f32_e32 v107, 0xbe3c28d5, v67
	v_add_f32_e32 v3, v3, v1
	v_add_f32_e32 v2, v2, v0
	v_fma_f32 v117, v34, s17, -v107
	v_add_f32_e32 v3, v29, v3
	v_add_f32_e32 v2, v28, v2
	v_mul_f32_e32 v28, 0x3eb8f4ab, v72
	v_add_f32_e32 v117, v117, v0
	v_add_f32_e32 v31, v31, v3
	v_fma_f32 v3, v35, s12, -v28
	v_mul_f32_e32 v29, 0xbf06c442, v77
	v_add_f32_e32 v2, v30, v2
	v_add_f32_e32 v3, v3, v117
	v_fma_f32 v30, v37, s19, -v29
	v_add_f32_e32 v3, v30, v3
	v_mul_f32_e32 v30, 0x3f2c7751, v82
	v_mul_f32_e32 v84, 0x3f7ee86f, v114
	v_fma_f32 v117, v39, s13, -v30
	v_add_f32_e32 v117, v117, v3
	v_mov_b32_e32 v3, v84
	v_add_f32_e32 v2, v24, v2
	v_fmac_f32_e32 v3, 0x3dbcf732, v49
	v_add_f32_e32 v25, v25, v31
	v_add_f32_e32 v118, v26, v2
	;; [unrolled: 1-line block ×12, first 2 shown]
	v_mul_f32_e32 v121, 0xbf06c442, v67
	v_add_f32_e32 v12, v12, v16
	v_add_f32_e32 v13, v13, v17
	;; [unrolled: 1-line block ×3, first 2 shown]
	v_fma_f32 v14, v34, s19, -v121
	v_mul_f32_e32 v122, 0x3f65296c, v72
	v_add_f32_e32 v13, v15, v13
	v_add_f32_e32 v14, v14, v0
	v_fma_f32 v15, v35, s15, -v122
	v_mul_f32_e32 v123, 0xbf7ee86f, v77
	v_add_f32_e32 v14, v15, v14
	v_fma_f32 v15, v37, s14, -v123
	v_add_f32_e32 v8, v8, v12
	v_mul_f32_e32 v125, 0x3f4c4adb, v82
	v_add_f32_e32 v14, v15, v14
	v_add_f32_e32 v9, v9, v13
	;; [unrolled: 1-line block ×3, first 2 shown]
	v_fma_f32 v8, v39, s16, -v125
	v_mul_f32_e32 v126, 0xbeb8f4ab, v87
	v_add_f32_e32 v9, v11, v9
	v_add_f32_e32 v8, v8, v14
	v_fma_f32 v11, v41, s12, -v126
	v_mul_f32_e32 v127, 0xbe3c28d5, v108
	v_add_f32_e32 v4, v4, v10
	v_add_f32_e32 v8, v11, v8
	v_fma_f32 v11, v43, s17, -v127
	v_add_f32_e32 v5, v5, v9
	v_add_f32_e32 v4, v6, v4
	v_mul_f32_e32 v6, 0x3f2c7751, v111
	v_add_f32_e32 v11, v11, v8
	v_add_f32_e32 v5, v7, v5
	v_fma_f32 v7, v45, s13, -v6
	v_mul_f32_e32 v128, 0xbf763a35, v113
	v_add_f32_e32 v7, v7, v11
	v_fma_f32 v9, v47, s18, -v128
	v_mul_f32_e32 v129, 0xbf4c4adb, v75
	v_add_f32_e32 v7, v9, v7
	v_mov_b32_e32 v9, v129
	v_add_f32_e32 v4, v32, v4
	v_mul_f32_e32 v32, 0x3f763a35, v80
	v_fmac_f32_e32 v9, 0xbf1a4643, v36
	v_mov_b32_e32 v10, v32
	v_add_f32_e32 v9, v9, v1
	v_add_f32_e32 v5, v33, v5
	v_fmac_f32_e32 v10, 0xbe8c1d8e, v38
	v_mul_f32_e32 v33, 0xbeb8f4ab, v85
	v_add_f32_e32 v9, v10, v9
	v_mov_b32_e32 v10, v33
	v_fmac_f32_e32 v10, 0x3f6eb680, v40
	v_mul_f32_e32 v130, 0xbf06c442, v98
	v_add_f32_e32 v9, v10, v9
	v_mov_b32_e32 v10, v130
	;; [unrolled: 4-line block ×5, first 2 shown]
	v_fmac_f32_e32 v10, 0xbf7ba420, v48
	v_mul_f32_e32 v134, 0xbf4c4adb, v67
	v_add_f32_e32 v9, v10, v9
	v_fma_f32 v10, v34, s16, -v134
	v_mul_f32_e32 v135, 0x3f763a35, v72
	v_add_f32_e32 v10, v10, v0
	v_fma_f32 v11, v35, s18, -v135
	;; [unrolled: 3-line block ×7, first 2 shown]
	v_mul_f32_e32 v141, 0x3f65296c, v114
	v_add_f32_e32 v11, v11, v10
	v_mov_b32_e32 v10, v141
	v_fmac_f32_e32 v10, 0x3ee437d1, v49
	v_mul_f32_e32 v142, 0x3f65296c, v113
	v_add_f32_e32 v10, v10, v9
	v_fma_f32 v9, v47, s15, -v142
	v_mul_f32_e32 v143, 0xbf763a35, v75
	v_add_f32_e32 v9, v9, v11
	v_mov_b32_e32 v11, v143
	v_mul_f32_e32 v144, 0x3f06c442, v80
	v_fmac_f32_e32 v11, 0xbe8c1d8e, v36
	v_mov_b32_e32 v12, v144
	v_add_f32_e32 v11, v11, v1
	v_fmac_f32_e32 v12, 0xbf59a7d5, v38
	v_mul_f32_e32 v145, 0x3f2c7751, v85
	v_add_f32_e32 v11, v12, v11
	v_mov_b32_e32 v12, v145
	v_fmac_f32_e32 v12, 0x3f3d2fb0, v40
	v_mul_f32_e32 v146, 0xbf65296c, v98
	v_add_f32_e32 v11, v12, v11
	v_mov_b32_e32 v12, v146
	;; [unrolled: 4-line block ×5, first 2 shown]
	v_fmac_f32_e32 v12, 0x3f6eb680, v48
	v_mul_f32_e32 v150, 0xbf763a35, v67
	v_add_f32_e32 v11, v12, v11
	v_fma_f32 v12, v34, s18, -v150
	v_mul_f32_e32 v151, 0x3f06c442, v72
	v_add_f32_e32 v12, v12, v0
	v_fma_f32 v13, v35, s19, -v151
	;; [unrolled: 3-line block ×7, first 2 shown]
	v_mul_f32_e32 v157, 0xbf4c4adb, v114
	v_add_f32_e32 v13, v13, v12
	v_mov_b32_e32 v12, v157
	v_fmac_f32_e32 v12, 0xbf1a4643, v49
	v_mul_f32_e32 v158, 0xbf4c4adb, v113
	v_add_f32_e32 v12, v12, v11
	v_fma_f32 v11, v47, s16, -v158
	v_mul_f32_e32 v159, 0xbf7ee86f, v75
	v_add_f32_e32 v11, v11, v13
	v_mov_b32_e32 v13, v159
	v_mul_f32_e32 v160, 0xbe3c28d5, v80
	v_fmac_f32_e32 v13, 0x3dbcf732, v36
	v_mov_b32_e32 v14, v160
	v_add_f32_e32 v13, v13, v1
	v_fmac_f32_e32 v14, 0xbf7ba420, v38
	v_mul_f32_e32 v161, 0x3f763a35, v85
	v_add_f32_e32 v13, v14, v13
	v_mov_b32_e32 v14, v161
	v_fmac_f32_e32 v14, 0xbe8c1d8e, v40
	v_mul_f32_e32 v162, 0x3eb8f4ab, v98
	v_add_f32_e32 v13, v14, v13
	v_mov_b32_e32 v14, v162
	;; [unrolled: 4-line block ×5, first 2 shown]
	v_fmac_f32_e32 v14, 0xbf1a4643, v48
	v_mul_f32_e32 v166, 0xbf7ee86f, v67
	v_mul_f32_e32 v26, 0xbf4c4adb, v87
	v_add_f32_e32 v13, v14, v13
	v_fma_f32 v14, v34, s14, -v166
	v_mul_f32_e32 v167, 0xbe3c28d5, v72
	v_fma_f32 v2, v41, s16, -v26
	v_mul_f32_e32 v27, 0x3f65296c, v108
	v_add_f32_e32 v14, v14, v0
	v_fma_f32 v15, v35, s17, -v167
	v_mul_f32_e32 v168, 0x3f763a35, v77
	v_add_f32_e32 v2, v2, v117
	;; [unrolled: 3-line block ×4, first 2 shown]
	v_fma_f32 v24, v45, s18, -v31
	v_add_f32_e32 v14, v15, v14
	v_fma_f32 v15, v39, s12, -v169
	v_mul_f32_e32 v170, 0xbf65296c, v87
	v_add_f32_e32 v2, v24, v2
	v_mul_f32_e32 v24, 0x3f7ee86f, v113
	v_add_f32_e32 v14, v15, v14
	v_fma_f32 v15, v41, s15, -v170
	v_mul_f32_e32 v171, 0xbf06c442, v108
	v_fma_f32 v25, v47, s14, -v24
	v_add_f32_e32 v14, v15, v14
	v_fma_f32 v15, v43, s19, -v171
	v_mul_f32_e32 v172, 0x3f4c4adb, v111
	v_add_f32_e32 v2, v25, v2
	v_mul_f32_e32 v25, 0xbf06c442, v75
	v_add_f32_e32 v14, v15, v14
	v_fma_f32 v15, v45, s16, -v172
	v_mul_f32_e32 v173, 0x3f2c7751, v114
	v_mov_b32_e32 v22, v25
	v_mul_f32_e32 v23, 0x3f65296c, v80
	v_add_f32_e32 v15, v15, v14
	v_mov_b32_e32 v14, v173
	v_fmac_f32_e32 v22, 0xbf59a7d5, v36
	v_mov_b32_e32 v116, v23
	v_fmac_f32_e32 v14, 0x3f3d2fb0, v49
	v_mul_f32_e32 v174, 0x3f2c7751, v113
	v_add_f32_e32 v22, v22, v1
	v_fmac_f32_e32 v116, 0x3ee437d1, v38
	v_add_f32_e32 v14, v14, v13
	v_fma_f32 v13, v47, s13, -v174
	v_mul_f32_e32 v75, 0xbf65296c, v75
	v_add_f32_e32 v22, v116, v22
	v_mul_f32_e32 v116, 0xbf7ee86f, v85
	v_add_f32_e32 v13, v13, v15
	v_mov_b32_e32 v15, v75
	v_mul_f32_e32 v80, 0xbf4c4adb, v80
	v_mov_b32_e32 v117, v116
	v_fmac_f32_e32 v15, 0x3ee437d1, v36
	v_mov_b32_e32 v16, v80
	v_fmac_f32_e32 v117, 0x3dbcf732, v40
	v_add_f32_e32 v15, v15, v1
	v_fmac_f32_e32 v16, 0xbf1a4643, v38
	v_mul_f32_e32 v85, 0x3e3c28d5, v85
	v_add_f32_e32 v22, v117, v22
	v_mul_f32_e32 v117, 0x3f4c4adb, v98
	v_add_f32_e32 v15, v16, v15
	v_mov_b32_e32 v16, v85
	v_mov_b32_e32 v118, v117
	v_fmac_f32_e32 v16, 0xbf7ba420, v40
	v_mul_f32_e32 v98, 0x3f763a35, v98
	v_fmac_f32_e32 v118, 0xbf1a4643, v42
	v_add_f32_e32 v15, v16, v15
	v_mov_b32_e32 v16, v98
	v_add_f32_e32 v22, v118, v22
	v_mul_f32_e32 v118, 0xbeb8f4ab, v109
	v_fmac_f32_e32 v16, 0xbe8c1d8e, v42
	v_mul_f32_e32 v109, 0x3f2c7751, v109
	v_add_f32_e32 v15, v16, v15
	v_mov_b32_e32 v16, v109
	v_mul_f32_e32 v119, 0xbe3c28d5, v112
	v_fmac_f32_e32 v16, 0x3f3d2fb0, v44
	v_mul_f32_e32 v112, 0xbeb8f4ab, v112
	v_add_f32_e32 v15, v16, v15
	v_mov_b32_e32 v16, v112
	;; [unrolled: 5-line block ×3, first 2 shown]
	v_fmac_f32_e32 v16, 0x3dbcf732, v48
	v_mul_f32_e32 v67, 0xbf65296c, v67
	v_add_f32_e32 v15, v16, v15
	v_fma_f32 v16, v34, s15, -v67
	v_mul_f32_e32 v72, 0xbf4c4adb, v72
	v_add_f32_e32 v16, v16, v0
	v_fma_f32 v17, v35, s16, -v72
	;; [unrolled: 3-line block ×5, first 2 shown]
	v_mul_f32_e32 v108, 0xbeb8f4ab, v108
	v_mov_b32_e32 v18, v118
	v_add_f32_e32 v16, v17, v16
	v_fma_f32 v17, v43, s12, -v108
	v_mul_f32_e32 v111, 0xbf7ee86f, v111
	v_fmac_f32_e32 v18, 0x3f6eb680, v44
	v_mov_b32_e32 v19, v119
	v_mul_f32_e32 v124, 0xbf763a35, v114
	v_add_f32_e32 v16, v17, v16
	v_fma_f32 v17, v45, s14, -v111
	v_mul_f32_e32 v114, 0xbf06c442, v114
	v_add_f32_e32 v18, v18, v22
	v_fmac_f32_e32 v19, 0xbf7ba420, v46
	v_add_f32_e32 v17, v17, v16
	v_mov_b32_e32 v16, v114
	v_add_f32_e32 v18, v19, v18
	v_mov_b32_e32 v19, v120
	v_fmac_f32_e32 v16, 0xbf59a7d5, v49
	v_mul_f32_e32 v113, 0xbf06c442, v113
	v_fmac_f32_e32 v19, 0x3f3d2fb0, v48
	v_mov_b32_e32 v8, v124
	v_add_f32_e32 v16, v16, v15
	v_fma_f32 v15, v47, s19, -v113
	v_add_f32_e32 v18, v19, v18
	v_fmac_f32_e32 v8, 0xbe8c1d8e, v49
	v_add_f32_e32 v15, v15, v17
	v_mul_f32_e32 v17, 0x3f3d2fb0, v36
	v_mul_f32_e32 v19, 0x3f3d2fb0, v34
	v_add_f32_e32 v8, v8, v18
	v_add_f32_e32 v17, v61, v17
	v_mul_f32_e32 v18, 0x3dbcf732, v38
	v_sub_f32_e32 v19, v19, v56
	v_mul_f32_e32 v20, 0x3dbcf732, v35
	v_add_f32_e32 v18, v65, v18
	v_add_f32_e32 v17, v17, v1
	v_sub_f32_e32 v20, v20, v59
	v_add_f32_e32 v19, v19, v0
	v_add_f32_e32 v17, v18, v17
	v_mul_f32_e32 v18, 0xbf1a4643, v40
	v_add_f32_e32 v19, v20, v19
	v_mul_f32_e32 v20, 0xbf1a4643, v37
	v_add_f32_e32 v18, v71, v18
	v_sub_f32_e32 v20, v20, v63
	v_add_f32_e32 v17, v18, v17
	v_mul_f32_e32 v18, 0xbf7ba420, v42
	v_add_f32_e32 v19, v20, v19
	v_mul_f32_e32 v20, 0xbf7ba420, v39
	v_add_f32_e32 v18, v76, v18
	v_sub_f32_e32 v20, v20, v68
	;; [unrolled: 6-line block ×6, first 2 shown]
	v_add_f32_e32 v18, v18, v17
	v_add_f32_e32 v17, v20, v19
	v_mul_f32_e32 v19, 0x3f6eb680, v36
	v_mul_f32_e32 v21, 0x3f6eb680, v34
	v_add_f32_e32 v19, v52, v19
	v_mul_f32_e32 v20, 0x3f3d2fb0, v38
	v_sub_f32_e32 v21, v21, v50
	v_mul_f32_e32 v22, 0x3f3d2fb0, v35
	v_add_f32_e32 v20, v54, v20
	v_add_f32_e32 v19, v19, v1
	v_sub_f32_e32 v22, v22, v51
	v_add_f32_e32 v21, v21, v0
	v_add_f32_e32 v19, v20, v19
	v_mul_f32_e32 v20, 0x3ee437d1, v40
	v_add_f32_e32 v21, v22, v21
	v_mul_f32_e32 v22, 0x3ee437d1, v37
	v_add_f32_e32 v20, v57, v20
	v_sub_f32_e32 v22, v22, v53
	v_add_f32_e32 v19, v20, v19
	v_mul_f32_e32 v20, 0x3dbcf732, v42
	v_add_f32_e32 v21, v22, v21
	v_mul_f32_e32 v22, 0x3dbcf732, v39
	v_add_f32_e32 v20, v60, v20
	v_sub_f32_e32 v22, v22, v55
	v_add_f32_e32 v19, v20, v19
	v_mul_f32_e32 v20, 0xbe8c1d8e, v44
	v_add_f32_e32 v21, v22, v21
	v_mul_f32_e32 v22, 0xbe8c1d8e, v41
	v_add_f32_e32 v20, v64, v20
	v_sub_f32_e32 v22, v22, v58
	v_add_f32_e32 v19, v20, v19
	v_mul_f32_e32 v20, 0xbf1a4643, v46
	v_add_f32_e32 v21, v22, v21
	v_mul_f32_e32 v22, 0xbf1a4643, v43
	v_add_f32_e32 v20, v69, v20
	v_sub_f32_e32 v22, v22, v62
	v_add_f32_e32 v19, v20, v19
	v_mul_f32_e32 v20, 0xbf59a7d5, v48
	v_add_f32_e32 v21, v22, v21
	v_mul_f32_e32 v22, 0xbf59a7d5, v45
	v_add_f32_e32 v20, v73, v20
	v_sub_f32_e32 v22, v22, v66
	v_add_f32_e32 v19, v20, v19
	v_mul_f32_e32 v20, 0xbf7ba420, v49
	v_add_f32_e32 v21, v22, v21
	v_mul_f32_e32 v22, 0xbf7ba420, v47
	v_add_f32_e32 v20, v78, v20
	v_sub_f32_e32 v22, v22, v70
	v_add_f32_e32 v20, v20, v19
	v_add_f32_e32 v19, v22, v21
	v_fma_f32 v21, v36, s17, -v93
	v_add_f32_e32 v21, v21, v1
	v_fma_f32 v22, v38, s12, -v94
	;; [unrolled: 2-line block ×7, first 2 shown]
	v_fmac_f32_e32 v107, 0xbf7ba420, v34
	v_add_f32_e32 v21, v22, v21
	v_add_f32_e32 v22, v107, v0
	v_fmac_f32_e32 v28, 0x3f6eb680, v35
	v_add_f32_e32 v22, v28, v22
	v_fmac_f32_e32 v29, 0xbf59a7d5, v37
	;; [unrolled: 2-line block ×6, first 2 shown]
	v_add_f32_e32 v26, v31, v22
	v_fma_f32 v22, v49, s14, -v84
	v_fmac_f32_e32 v24, 0x3dbcf732, v47
	v_add_f32_e32 v22, v22, v21
	v_add_f32_e32 v21, v24, v26
	v_fma_f32 v24, v36, s19, -v25
	v_add_f32_e32 v24, v24, v1
	v_fma_f32 v23, v38, s15, -v23
	;; [unrolled: 2-line block ×7, first 2 shown]
	v_fmac_f32_e32 v121, 0xbf59a7d5, v34
	v_add_f32_e32 v23, v24, v23
	v_add_f32_e32 v24, v121, v0
	v_fmac_f32_e32 v122, 0x3ee437d1, v35
	v_add_f32_e32 v24, v122, v24
	v_fmac_f32_e32 v123, 0x3dbcf732, v37
	;; [unrolled: 2-line block ×3, first 2 shown]
	v_add_f32_e32 v25, v125, v24
	v_fma_f32 v24, v49, s18, -v124
	v_fmac_f32_e32 v126, 0x3f6eb680, v41
	v_add_f32_e32 v24, v24, v23
	v_add_f32_e32 v23, v126, v25
	v_fmac_f32_e32 v127, 0xbf7ba420, v43
	v_add_f32_e32 v23, v127, v23
	v_fmac_f32_e32 v6, 0x3f3d2fb0, v45
	v_add_f32_e32 v6, v6, v23
	v_fmac_f32_e32 v128, 0xbe8c1d8e, v47
	v_add_f32_e32 v23, v128, v6
	v_fma_f32 v6, v36, s16, -v129
	v_add_f32_e32 v6, v6, v1
	v_fma_f32 v25, v38, s18, -v32
	v_add_f32_e32 v6, v25, v6
	v_fma_f32 v25, v40, s12, -v33
	v_add_f32_e32 v6, v25, v6
	v_fma_f32 v25, v42, s19, -v130
	v_add_f32_e32 v6, v25, v6
	v_fma_f32 v25, v44, s14, -v131
	v_add_f32_e32 v6, v25, v6
	v_fma_f32 v25, v46, s13, -v132
	v_add_f32_e32 v6, v25, v6
	v_fma_f32 v25, v48, s17, -v133
	v_add_f32_e32 v6, v25, v6
	v_fma_f32 v25, v49, s15, -v141
	v_fmac_f32_e32 v134, 0xbf1a4643, v34
	v_add_f32_e32 v26, v25, v6
	v_add_f32_e32 v6, v134, v0
	v_fmac_f32_e32 v135, 0xbe8c1d8e, v35
	v_add_f32_e32 v6, v135, v6
	v_fmac_f32_e32 v136, 0x3f6eb680, v37
	v_add_f32_e32 v6, v136, v6
	v_fmac_f32_e32 v137, 0xbf59a7d5, v39
	v_add_f32_e32 v6, v137, v6
	v_fmac_f32_e32 v138, 0x3dbcf732, v41
	v_add_f32_e32 v6, v138, v6
	v_fmac_f32_e32 v139, 0x3f3d2fb0, v43
	v_add_f32_e32 v6, v139, v6
	v_fmac_f32_e32 v140, 0xbf7ba420, v45
	v_add_f32_e32 v6, v140, v6
	v_fmac_f32_e32 v142, 0x3ee437d1, v47
	v_add_f32_e32 v25, v142, v6
	v_fma_f32 v6, v36, s18, -v143
	v_add_f32_e32 v6, v6, v1
	v_fma_f32 v27, v38, s19, -v144
	v_add_f32_e32 v6, v27, v6
	v_fma_f32 v27, v40, s13, -v145
	v_add_f32_e32 v6, v27, v6
	v_fma_f32 v27, v42, s15, -v146
	v_add_f32_e32 v6, v27, v6
	v_fma_f32 v27, v44, s17, -v147
	v_add_f32_e32 v6, v27, v6
	v_fma_f32 v27, v46, s14, -v148
	v_add_f32_e32 v6, v27, v6
	v_fma_f32 v27, v48, s12, -v149
	v_add_f32_e32 v6, v27, v6
	v_fma_f32 v27, v49, s16, -v157
	v_fmac_f32_e32 v150, 0xbe8c1d8e, v34
	v_add_f32_e32 v28, v27, v6
	v_add_f32_e32 v6, v150, v0
	v_fmac_f32_e32 v151, 0xbf59a7d5, v35
	v_add_f32_e32 v6, v151, v6
	v_fmac_f32_e32 v152, 0x3f3d2fb0, v37
	v_add_f32_e32 v6, v152, v6
	v_fmac_f32_e32 v153, 0x3ee437d1, v39
	v_add_f32_e32 v6, v153, v6
	v_fmac_f32_e32 v154, 0xbf7ba420, v41
	;; [unrolled: 32-line block ×3, first 2 shown]
	v_add_f32_e32 v6, v170, v6
	v_fmac_f32_e32 v171, 0xbf59a7d5, v43
	v_add_f32_e32 v6, v171, v6
	v_fmac_f32_e32 v172, 0xbf1a4643, v45
	;; [unrolled: 2-line block ×3, first 2 shown]
	v_add_f32_e32 v29, v174, v6
	v_fma_f32 v6, v36, s15, -v75
	v_add_f32_e32 v1, v6, v1
	v_fma_f32 v6, v38, s16, -v80
	;; [unrolled: 2-line block ×3, first 2 shown]
	v_fmac_f32_e32 v67, 0x3ee437d1, v34
	v_add_f32_e32 v1, v6, v1
	v_fma_f32 v6, v42, s18, -v98
	v_add_f32_e32 v0, v67, v0
	v_fmac_f32_e32 v72, 0xbf1a4643, v35
	v_add_f32_e32 v1, v6, v1
	v_fma_f32 v6, v44, s13, -v109
	v_add_f32_e32 v0, v72, v0
	;; [unrolled: 4-line block ×5, first 2 shown]
	v_fmac_f32_e32 v108, 0x3f6eb680, v43
	v_add_f32_e32 v1, v6, v1
	v_add_f32_e32 v0, v108, v0
	v_fmac_f32_e32 v111, 0x3dbcf732, v45
	v_mul_lo_u16_e32 v6, 17, v105
	v_add_f32_e32 v0, v111, v0
	v_fmac_f32_e32 v113, 0xbf59a7d5, v47
	v_add_lshl_u32 v6, v104, v6, 3
	v_add_f32_e32 v0, v113, v0
	ds_write2_b64 v6, v[4:5], v[19:20] offset1:1
	ds_write2_b64 v6, v[17:18], v[15:16] offset0:2 offset1:3
	ds_write2_b64 v6, v[13:14], v[11:12] offset0:4 offset1:5
	;; [unrolled: 1-line block ×7, first 2 shown]
	ds_write_b64 v6, v[89:90] offset:128
.LBB0_7:
	s_or_b64 exec, exec, s[4:5]
	s_movk_i32 s12, 0x99
	v_add_co_u32_e32 v48, vcc, s12, v105
	s_movk_i32 s12, 0xf1
	v_mul_lo_u16_sdwa v0, v105, s12 dst_sel:DWORD dst_unused:UNUSED_PAD src0_sel:BYTE_0 src1_sel:DWORD
	v_lshrrev_b16_e32 v43, 12, v0
	v_mul_lo_u16_e32 v0, 17, v43
	v_sub_u16_e32 v47, v105, v0
	v_add_co_u32_e32 v40, vcc, 51, v105
	v_lshlrev_b16_e32 v4, 1, v47
	v_and_b32_e32 v4, 0xfe, v4
	v_mul_lo_u16_sdwa v10, v40, s12 dst_sel:DWORD dst_unused:UNUSED_PAD src0_sel:BYTE_0 src1_sel:DWORD
	v_lshlrev_b32_e32 v9, 3, v4
	v_lshrrev_b16_e32 v69, 12, v10
	s_load_dwordx4 s[4:7], s[6:7], 0x0
	s_waitcnt lgkmcnt(0)
	s_barrier
	v_add_co_u32_e32 v44, vcc, 0x66, v105
	global_load_dwordx4 v[16:19], v9, s[2:3]
	v_mul_lo_u16_e32 v9, 17, v69
	v_mov_b32_e32 v8, 4
	v_mul_lo_u16_sdwa v0, v44, s12 dst_sel:DWORD dst_unused:UNUSED_PAD src0_sel:BYTE_0 src1_sel:DWORD
	v_sub_u16_e32 v70, v40, v9
	s_movk_i32 s13, 0xcc
	v_lshrrev_b16_e32 v51, 12, v0
	v_mul_lo_u16_sdwa v4, v48, s12 dst_sel:DWORD dst_unused:UNUSED_PAD src0_sel:BYTE_0 src1_sel:DWORD
	v_lshlrev_b32_sdwa v9, v8, v70 dst_sel:DWORD dst_unused:UNUSED_PAD src0_sel:DWORD src1_sel:BYTE_0
	v_add_co_u32_e32 v52, vcc, s13, v105
	v_mul_lo_u16_e32 v0, 17, v51
	v_lshrrev_b16_e32 v67, 12, v4
	global_load_dwordx4 v[12:15], v9, s[2:3]
	v_mul_lo_u16_sdwa v9, v52, s12 dst_sel:DWORD dst_unused:UNUSED_PAD src0_sel:BYTE_0 src1_sel:DWORD
	v_sub_u16_e32 v55, v44, v0
	v_mul_lo_u16_e32 v4, 17, v67
	v_lshrrev_b16_e32 v71, 12, v9
	v_lshlrev_b32_sdwa v0, v8, v55 dst_sel:DWORD dst_unused:UNUSED_PAD src0_sel:DWORD src1_sel:BYTE_0
	v_sub_u16_e32 v68, v48, v4
	v_mul_lo_u16_e32 v9, 17, v71
	global_load_dwordx4 v[0:3], v0, s[2:3]
	v_lshlrev_b32_sdwa v4, v8, v68 dst_sel:DWORD dst_unused:UNUSED_PAD src0_sel:DWORD src1_sel:BYTE_0
	global_load_dwordx4 v[4:7], v4, s[2:3]
	v_sub_u16_e32 v72, v52, v9
	v_lshlrev_b32_sdwa v8, v8, v72 dst_sel:DWORD dst_unused:UNUSED_PAD src0_sel:DWORD src1_sel:BYTE_0
	global_load_dwordx4 v[8:11], v8, s[2:3]
	v_add_lshl_u32 v107, v104, v105, 3
	v_add_u32_e32 v56, 0x800, v107
	ds_read2_b64 v[20:23], v107 offset1:51
	ds_read2_b64 v[24:27], v107 offset0:204 offset1:255
	v_add_u32_e32 v57, 0xc00, v107
	ds_read2_b64 v[28:31], v107 offset0:102 offset1:153
	v_add_u32_e32 v58, 0x1000, v107
	ds_read2_b64 v[32:35], v56 offset0:50 offset1:101
	ds_read_b64 v[41:42], v107 offset:5712
	ds_read2_b64 v[36:39], v58 offset0:100 offset1:151
	ds_read2_b64 v[59:62], v57 offset0:126 offset1:177
	;; [unrolled: 1-line block ×3, first 2 shown]
	v_mad_legacy_u16 v43, v43, 51, v47
	v_and_b32_e32 v43, 0xff, v43
	v_add_lshl_u32 v108, v104, v43, 3
	s_waitcnt vmcnt(0) lgkmcnt(0)
	s_barrier
	v_lshlrev_b32_e32 v43, 5, v105
	s_movk_i32 s12, 0xa1
	v_lshlrev_b32_e32 v40, 4, v40
	v_lshlrev_b32_e32 v48, 4, v48
	;; [unrolled: 1-line block ×3, first 2 shown]
	v_mul_f32_e32 v54, v60, v19
	v_mul_f32_e32 v73, v59, v19
	v_fmac_f32_e32 v73, v60, v18
	v_mul_f32_e32 v76, v62, v15
	v_mul_f32_e32 v77, v61, v15
	;; [unrolled: 1-line block ×4, first 2 shown]
	v_fmac_f32_e32 v77, v62, v14
	v_fmac_f32_e32 v75, v33, v12
	v_mul_f32_e32 v45, v35, v1
	v_mul_f32_e32 v46, v34, v1
	;; [unrolled: 1-line block ×4, first 2 shown]
	v_fma_f32 v45, v34, v0, -v45
	v_fmac_f32_e32 v46, v35, v0
	v_fma_f32 v49, v36, v2, -v49
	v_mul_f32_e32 v34, v64, v5
	v_mul_f32_e32 v53, v63, v5
	;; [unrolled: 1-line block ×4, first 2 shown]
	v_fmac_f32_e32 v50, v37, v2
	v_mul_f32_e32 v37, v26, v17
	v_fma_f32 v63, v63, v4, -v34
	v_fmac_f32_e32 v53, v64, v4
	v_fma_f32 v64, v38, v6, -v35
	v_fma_f32 v34, v26, v16, -v36
	v_fma_f32 v35, v59, v18, -v54
	v_mul_f32_e32 v26, v66, v9
	v_fmac_f32_e32 v37, v27, v16
	v_fma_f32 v59, v61, v14, -v76
	v_fma_f32 v61, v65, v8, -v26
	v_mul_f32_e32 v26, v42, v11
	v_add_f32_e32 v27, v34, v35
	v_mul_f32_e32 v62, v65, v9
	v_fma_f32 v65, v41, v10, -v26
	v_add_f32_e32 v26, v20, v34
	v_fma_f32 v20, -0.5, v27, v20
	v_fma_f32 v54, v32, v12, -v74
	v_sub_f32_e32 v27, v37, v73
	v_mov_b32_e32 v32, v20
	v_add_f32_e32 v33, v37, v73
	v_fmac_f32_e32 v32, 0x3f5db3d7, v27
	v_fmac_f32_e32 v20, 0xbf5db3d7, v27
	v_add_f32_e32 v27, v21, v37
	v_fma_f32 v21, -0.5, v33, v21
	v_add_f32_e32 v26, v26, v35
	v_sub_f32_e32 v34, v34, v35
	v_mov_b32_e32 v33, v21
	v_add_f32_e32 v35, v54, v59
	v_fmac_f32_e32 v33, 0xbf5db3d7, v34
	v_fmac_f32_e32 v21, 0x3f5db3d7, v34
	v_add_f32_e32 v34, v22, v54
	v_fma_f32 v22, -0.5, v35, v22
	v_sub_f32_e32 v35, v75, v77
	v_mov_b32_e32 v36, v22
	v_add_f32_e32 v37, v75, v77
	v_mul_f32_e32 v60, v38, v7
	v_fmac_f32_e32 v36, 0x3f5db3d7, v35
	v_fmac_f32_e32 v22, 0xbf5db3d7, v35
	v_add_f32_e32 v35, v23, v75
	v_fmac_f32_e32 v23, -0.5, v37
	v_fmac_f32_e32 v60, v39, v6
	v_sub_f32_e32 v38, v54, v59
	v_mov_b32_e32 v37, v23
	v_add_f32_e32 v39, v45, v49
	v_fmac_f32_e32 v62, v66, v8
	v_mul_f32_e32 v66, v41, v11
	v_fmac_f32_e32 v37, 0xbf5db3d7, v38
	v_fmac_f32_e32 v23, 0x3f5db3d7, v38
	v_add_f32_e32 v38, v28, v45
	v_fma_f32 v28, -0.5, v39, v28
	v_fmac_f32_e32 v66, v42, v10
	v_sub_f32_e32 v39, v46, v50
	v_mov_b32_e32 v41, v28
	v_add_f32_e32 v42, v46, v50
	v_fmac_f32_e32 v41, 0x3f5db3d7, v39
	v_fmac_f32_e32 v28, 0xbf5db3d7, v39
	v_add_f32_e32 v39, v29, v46
	v_fma_f32 v29, -0.5, v42, v29
	v_add_f32_e32 v27, v27, v73
	v_sub_f32_e32 v45, v45, v49
	v_mov_b32_e32 v42, v29
	v_add_f32_e32 v46, v63, v64
	v_fmac_f32_e32 v42, 0xbf5db3d7, v45
	v_fmac_f32_e32 v29, 0x3f5db3d7, v45
	v_add_f32_e32 v45, v30, v63
	v_fma_f32 v30, -0.5, v46, v30
	ds_write2_b64 v108, v[26:27], v[32:33] offset1:17
	ds_write_b64 v108, v[20:21] offset:272
	v_mul_u32_u24_e32 v20, 51, v69
	v_add_f32_e32 v38, v38, v49
	v_add_f32_e32 v39, v39, v50
	v_sub_f32_e32 v46, v53, v60
	v_mov_b32_e32 v49, v30
	v_add_f32_e32 v50, v53, v60
	v_add_u32_sdwa v20, v20, v70 dst_sel:DWORD dst_unused:UNUSED_PAD src0_sel:DWORD src1_sel:BYTE_0
	v_fmac_f32_e32 v49, 0x3f5db3d7, v46
	v_fmac_f32_e32 v30, 0xbf5db3d7, v46
	v_add_f32_e32 v46, v31, v53
	v_fmac_f32_e32 v31, -0.5, v50
	v_add_lshl_u32 v109, v104, v20, 3
	v_mul_u32_u24_e32 v20, 51, v51
	v_sub_f32_e32 v53, v63, v64
	v_mov_b32_e32 v50, v31
	v_add_f32_e32 v54, v61, v65
	v_add_u32_sdwa v20, v20, v55 dst_sel:DWORD dst_unused:UNUSED_PAD src0_sel:DWORD src1_sel:BYTE_0
	v_fmac_f32_e32 v50, 0xbf5db3d7, v53
	v_fmac_f32_e32 v31, 0x3f5db3d7, v53
	v_add_f32_e32 v53, v24, v61
	v_fma_f32 v24, -0.5, v54, v24
	v_add_lshl_u32 v110, v104, v20, 3
	v_mul_u32_u24_e32 v20, 51, v67
	v_add_f32_e32 v34, v34, v59
	v_add_f32_e32 v46, v46, v60
	v_sub_f32_e32 v54, v62, v66
	v_mov_b32_e32 v59, v24
	v_add_f32_e32 v60, v62, v66
	v_add_u32_sdwa v20, v20, v68 dst_sel:DWORD dst_unused:UNUSED_PAD src0_sel:DWORD src1_sel:BYTE_0
	v_fmac_f32_e32 v59, 0x3f5db3d7, v54
	v_fmac_f32_e32 v24, 0xbf5db3d7, v54
	v_add_f32_e32 v54, v25, v62
	v_fmac_f32_e32 v25, -0.5, v60
	v_add_lshl_u32 v111, v104, v20, 3
	v_mul_u32_u24_e32 v20, 51, v71
	v_sub_f32_e32 v61, v61, v65
	v_mov_b32_e32 v60, v25
	v_add_u32_sdwa v20, v20, v72 dst_sel:DWORD dst_unused:UNUSED_PAD src0_sel:DWORD src1_sel:BYTE_0
	v_add_f32_e32 v35, v35, v77
	v_add_f32_e32 v45, v45, v64
	;; [unrolled: 1-line block ×4, first 2 shown]
	v_fmac_f32_e32 v60, 0xbf5db3d7, v61
	v_fmac_f32_e32 v25, 0x3f5db3d7, v61
	v_add_lshl_u32 v112, v104, v20, 3
	ds_write2_b64 v109, v[34:35], v[36:37] offset1:17
	ds_write_b64 v109, v[22:23] offset:272
	ds_write2_b64 v110, v[38:39], v[41:42] offset1:17
	ds_write_b64 v110, v[28:29] offset:272
	;; [unrolled: 2-line block ×4, first 2 shown]
	s_waitcnt lgkmcnt(0)
	s_barrier
	global_load_dwordx4 v[24:27], v43, s[2:3] offset:272
	global_load_dwordx4 v[20:23], v43, s[2:3] offset:288
	v_mul_lo_u16_sdwa v28, v44, s12 dst_sel:DWORD dst_unused:UNUSED_PAD src0_sel:BYTE_0 src1_sel:DWORD
	v_lshrrev_b16_e32 v28, 13, v28
	v_mul_lo_u16_e32 v28, 51, v28
	v_sub_u16_e32 v28, v44, v28
	v_and_b32_e32 v47, 0xff, v28
	v_lshlrev_b32_e32 v36, 5, v47
	global_load_dwordx4 v[32:35], v36, s[2:3] offset:272
	global_load_dwordx4 v[28:31], v36, s[2:3] offset:288
	v_mov_b32_e32 v45, s3
	v_add_co_u32_e32 v43, vcc, s2, v43
	ds_read2_b64 v[36:39], v107 offset1:51
	ds_read2_b64 v[59:62], v107 offset0:102 offset1:153
	ds_read2_b64 v[63:66], v56 offset0:50 offset1:101
	;; [unrolled: 1-line block ×6, first 2 shown]
	ds_read_b64 v[41:42], v107 offset:5712
	v_addc_co_u32_e32 v51, vcc, 0, v45, vcc
	v_add_lshl_u32 v114, v104, v47, 3
	s_waitcnt vmcnt(0) lgkmcnt(0)
	s_barrier
	v_lshlrev_b32_e32 v44, 4, v44
	v_mul_f32_e32 v45, v62, v25
	v_fma_f32 v50, v61, v24, -v45
	v_mul_f32_e32 v45, v64, v27
	v_mul_f32_e32 v55, v61, v25
	v_fma_f32 v54, v63, v26, -v45
	v_mul_f32_e32 v45, v70, v21
	v_fmac_f32_e32 v55, v62, v24
	v_mul_f32_e32 v61, v63, v27
	v_fma_f32 v62, v69, v20, -v45
	v_mul_f32_e32 v45, v72, v23
	v_fmac_f32_e32 v61, v64, v26
	;; [unrolled: 4-line block ×6, first 2 shown]
	v_fma_f32 v66, v73, v22, -v45
	v_mul_f32_e32 v73, v73, v23
	v_mul_f32_e32 v45, v78, v33
	v_fmac_f32_e32 v73, v74, v22
	v_fma_f32 v74, v77, v32, -v45
	v_mul_f32_e32 v77, v77, v33
	v_mul_f32_e32 v45, v68, v35
	v_fmac_f32_e32 v77, v78, v32
	v_fma_f32 v78, v67, v34, -v45
	v_mul_f32_e32 v45, v82, v29
	v_mul_f32_e32 v84, v41, v31
	v_fma_f32 v83, v81, v28, -v45
	v_mul_f32_e32 v81, v81, v29
	v_mul_f32_e32 v45, v42, v31
	v_fmac_f32_e32 v84, v42, v30
	v_add_f32_e32 v42, v54, v62
	v_fmac_f32_e32 v81, v82, v28
	v_fma_f32 v82, v41, v30, -v45
	v_fma_f32 v45, -0.5, v42, v36
	v_sub_f32_e32 v42, v55, v69
	v_mov_b32_e32 v49, v45
	v_fmac_f32_e32 v49, 0x3f737871, v42
	v_sub_f32_e32 v46, v61, v63
	v_sub_f32_e32 v53, v50, v54
	;; [unrolled: 1-line block ×3, first 2 shown]
	v_fmac_f32_e32 v45, 0xbf737871, v42
	v_fmac_f32_e32 v49, 0x3f167918, v46
	v_add_f32_e32 v53, v53, v65
	v_fmac_f32_e32 v45, 0xbf167918, v46
	v_fmac_f32_e32 v49, 0x3e9e377a, v53
	v_fmac_f32_e32 v45, 0x3e9e377a, v53
	v_add_f32_e32 v53, v50, v64
	v_add_f32_e32 v41, v36, v50
	v_fma_f32 v36, -0.5, v53, v36
	v_mov_b32_e32 v53, v36
	v_mul_f32_e32 v79, v79, v21
	v_add_f32_e32 v41, v41, v54
	v_fmac_f32_e32 v53, 0xbf737871, v46
	v_fmac_f32_e32 v36, 0x3f737871, v46
	v_add_f32_e32 v46, v61, v63
	v_fmac_f32_e32 v79, v80, v20
	v_mul_f32_e32 v80, v67, v35
	v_add_f32_e32 v41, v41, v62
	v_sub_f32_e32 v65, v54, v50
	v_sub_f32_e32 v67, v62, v64
	v_fma_f32 v46, -0.5, v46, v37
	v_add_f32_e32 v41, v41, v64
	v_fmac_f32_e32 v53, 0x3f167918, v42
	v_add_f32_e32 v65, v65, v67
	v_fmac_f32_e32 v36, 0xbf167918, v42
	v_sub_f32_e32 v64, v50, v64
	v_mov_b32_e32 v50, v46
	v_fmac_f32_e32 v53, 0x3e9e377a, v65
	v_fmac_f32_e32 v36, 0x3e9e377a, v65
	v_fmac_f32_e32 v50, 0xbf737871, v64
	v_sub_f32_e32 v62, v54, v62
	v_sub_f32_e32 v54, v55, v61
	v_sub_f32_e32 v65, v69, v63
	v_fmac_f32_e32 v46, 0x3f737871, v64
	v_fmac_f32_e32 v50, 0xbf167918, v62
	v_add_f32_e32 v54, v54, v65
	v_fmac_f32_e32 v46, 0x3f167918, v62
	v_fmac_f32_e32 v50, 0x3e9e377a, v54
	;; [unrolled: 1-line block ×3, first 2 shown]
	v_add_f32_e32 v54, v55, v69
	v_add_f32_e32 v42, v37, v55
	v_fma_f32 v37, -0.5, v54, v37
	v_mov_b32_e32 v54, v37
	v_add_f32_e32 v42, v42, v61
	v_fmac_f32_e32 v54, 0x3f737871, v62
	v_sub_f32_e32 v55, v61, v55
	v_sub_f32_e32 v61, v63, v69
	v_fmac_f32_e32 v37, 0xbf737871, v62
	v_fmac_f32_e32 v54, 0xbf167918, v64
	v_add_f32_e32 v55, v55, v61
	v_fmac_f32_e32 v37, 0x3f167918, v64
	v_fmac_f32_e32 v54, 0x3e9e377a, v55
	;; [unrolled: 1-line block ×3, first 2 shown]
	v_add_f32_e32 v55, v38, v70
	v_add_f32_e32 v55, v55, v72
	v_add_f32_e32 v55, v55, v76
	v_add_f32_e32 v61, v55, v66
	v_add_f32_e32 v55, v72, v76
	v_add_f32_e32 v42, v42, v63
	v_fma_f32 v63, -0.5, v55, v38
	v_sub_f32_e32 v55, v71, v73
	v_mov_b32_e32 v65, v63
	v_fmac_f32_e32 v65, 0x3f737871, v55
	v_sub_f32_e32 v62, v75, v79
	v_sub_f32_e32 v64, v70, v72
	;; [unrolled: 1-line block ×3, first 2 shown]
	v_fmac_f32_e32 v63, 0xbf737871, v55
	v_fmac_f32_e32 v65, 0x3f167918, v62
	v_add_f32_e32 v64, v64, v67
	v_fmac_f32_e32 v63, 0xbf167918, v62
	v_fmac_f32_e32 v65, 0x3e9e377a, v64
	;; [unrolled: 1-line block ×3, first 2 shown]
	v_add_f32_e32 v64, v70, v66
	v_fma_f32 v38, -0.5, v64, v38
	v_mov_b32_e32 v67, v38
	v_fmac_f32_e32 v67, 0xbf737871, v62
	v_fmac_f32_e32 v38, 0x3f737871, v62
	v_fmac_f32_e32 v67, 0x3f167918, v55
	v_fmac_f32_e32 v38, 0xbf167918, v55
	v_add_f32_e32 v55, v39, v71
	v_add_f32_e32 v55, v55, v75
	v_fmac_f32_e32 v80, v68, v34
	v_sub_f32_e32 v64, v72, v70
	v_sub_f32_e32 v68, v76, v66
	v_add_f32_e32 v55, v55, v79
	v_add_f32_e32 v64, v64, v68
	;; [unrolled: 1-line block ×4, first 2 shown]
	v_fmac_f32_e32 v67, 0x3e9e377a, v64
	v_fmac_f32_e32 v38, 0x3e9e377a, v64
	v_fma_f32 v64, -0.5, v55, v39
	v_sub_f32_e32 v55, v70, v66
	v_mov_b32_e32 v66, v64
	v_add_f32_e32 v42, v42, v69
	v_fmac_f32_e32 v66, 0xbf737871, v55
	v_sub_f32_e32 v69, v72, v76
	v_sub_f32_e32 v68, v71, v75
	;; [unrolled: 1-line block ×3, first 2 shown]
	v_fmac_f32_e32 v64, 0x3f737871, v55
	v_fmac_f32_e32 v66, 0xbf167918, v69
	v_add_f32_e32 v68, v68, v70
	v_fmac_f32_e32 v64, 0x3f167918, v69
	v_fmac_f32_e32 v66, 0x3e9e377a, v68
	;; [unrolled: 1-line block ×3, first 2 shown]
	v_add_f32_e32 v68, v71, v73
	v_fmac_f32_e32 v39, -0.5, v68
	v_mov_b32_e32 v68, v39
	v_fmac_f32_e32 v68, 0x3f737871, v69
	v_fmac_f32_e32 v39, 0xbf737871, v69
	;; [unrolled: 1-line block ×4, first 2 shown]
	v_add_f32_e32 v55, v59, v74
	v_add_f32_e32 v55, v55, v78
	;; [unrolled: 1-line block ×3, first 2 shown]
	v_sub_f32_e32 v70, v75, v71
	v_sub_f32_e32 v71, v79, v73
	v_add_f32_e32 v69, v55, v82
	v_add_f32_e32 v55, v78, v83
	;; [unrolled: 1-line block ×3, first 2 shown]
	v_fma_f32 v71, -0.5, v55, v59
	v_sub_f32_e32 v55, v77, v84
	v_mov_b32_e32 v73, v71
	v_fmac_f32_e32 v68, 0x3e9e377a, v70
	v_fmac_f32_e32 v39, 0x3e9e377a, v70
	;; [unrolled: 1-line block ×3, first 2 shown]
	v_sub_f32_e32 v70, v80, v81
	v_sub_f32_e32 v72, v74, v78
	;; [unrolled: 1-line block ×3, first 2 shown]
	v_fmac_f32_e32 v71, 0xbf737871, v55
	v_fmac_f32_e32 v73, 0x3f167918, v70
	v_add_f32_e32 v72, v72, v75
	v_fmac_f32_e32 v71, 0xbf167918, v70
	v_fmac_f32_e32 v73, 0x3e9e377a, v72
	;; [unrolled: 1-line block ×3, first 2 shown]
	v_add_f32_e32 v72, v74, v82
	v_fma_f32 v59, -0.5, v72, v59
	v_mov_b32_e32 v75, v59
	v_fmac_f32_e32 v75, 0xbf737871, v70
	v_fmac_f32_e32 v59, 0x3f737871, v70
	;; [unrolled: 1-line block ×4, first 2 shown]
	v_add_f32_e32 v55, v60, v77
	v_add_f32_e32 v55, v55, v80
	v_sub_f32_e32 v72, v78, v74
	v_sub_f32_e32 v76, v83, v82
	v_add_f32_e32 v55, v55, v81
	v_add_f32_e32 v72, v72, v76
	;; [unrolled: 1-line block ×4, first 2 shown]
	v_fmac_f32_e32 v75, 0x3e9e377a, v72
	v_fmac_f32_e32 v59, 0x3e9e377a, v72
	v_fma_f32 v72, -0.5, v55, v60
	v_sub_f32_e32 v55, v74, v82
	v_mov_b32_e32 v74, v72
	v_fmac_f32_e32 v74, 0xbf737871, v55
	v_sub_f32_e32 v78, v78, v83
	v_sub_f32_e32 v76, v77, v80
	;; [unrolled: 1-line block ×3, first 2 shown]
	v_fmac_f32_e32 v72, 0x3f737871, v55
	v_fmac_f32_e32 v74, 0xbf167918, v78
	v_add_f32_e32 v76, v76, v79
	v_fmac_f32_e32 v72, 0x3f167918, v78
	v_fmac_f32_e32 v74, 0x3e9e377a, v76
	;; [unrolled: 1-line block ×3, first 2 shown]
	v_add_f32_e32 v76, v77, v84
	v_fmac_f32_e32 v60, -0.5, v76
	v_mov_b32_e32 v76, v60
	v_fmac_f32_e32 v76, 0x3f737871, v78
	v_sub_f32_e32 v77, v80, v77
	v_sub_f32_e32 v79, v81, v84
	v_fmac_f32_e32 v60, 0xbf737871, v78
	v_fmac_f32_e32 v76, 0xbf167918, v55
	v_add_f32_e32 v77, v77, v79
	v_fmac_f32_e32 v60, 0x3f167918, v55
	ds_write2_b64 v107, v[41:42], v[49:50] offset1:51
	ds_write2_b64 v107, v[53:54], v[36:37] offset0:102 offset1:153
	ds_write2_b64 v107, v[45:46], v[61:62] offset0:204 offset1:255
	;; [unrolled: 1-line block ×4, first 2 shown]
	v_add_u32_e32 v36, 0xc00, v114
	v_fmac_f32_e32 v76, 0x3e9e377a, v77
	v_fmac_f32_e32 v60, 0x3e9e377a, v77
	ds_write2_b64 v36, v[69:70], v[73:74] offset0:126 offset1:177
	v_add_u32_e32 v36, 0x1000, v114
	ds_write2_b64 v36, v[75:76], v[59:60] offset0:100 offset1:151
	ds_write_b64 v114, v[71:72] offset:5712
	v_lshlrev_b32_e32 v36, 4, v105
	v_sub_co_u32_e32 v36, vcc, v43, v36
	v_subbrev_co_u32_e32 v37, vcc, 0, v51, vcc
	s_waitcnt lgkmcnt(0)
	s_barrier
	global_load_dwordx4 v[36:39], v[36:37], off offset:1904
	s_nop 0
	global_load_dwordx4 v[40:43], v40, s[2:3] offset:1904
	s_nop 0
	global_load_dwordx4 v[44:47], v44, s[2:3] offset:1904
	;; [unrolled: 2-line block ×4, first 2 shown]
	ds_read2_b64 v[60:63], v107 offset1:51
	ds_read2_b64 v[68:71], v107 offset0:204 offset1:255
	ds_read2_b64 v[72:75], v57 offset0:126 offset1:177
	;; [unrolled: 1-line block ×6, first 2 shown]
	ds_read_b64 v[84:85], v107 offset:5712
	s_waitcnt vmcnt(4) lgkmcnt(6)
	v_mul_f32_e32 v86, v71, v37
	v_fma_f32 v86, v70, v36, -v86
	v_mul_f32_e32 v70, v70, v37
	v_fmac_f32_e32 v70, v71, v36
	s_waitcnt lgkmcnt(5)
	v_mul_f32_e32 v71, v73, v39
	v_fma_f32 v71, v72, v38, -v71
	v_mul_f32_e32 v87, v72, v39
	s_waitcnt vmcnt(3) lgkmcnt(4)
	v_mul_f32_e32 v72, v77, v41
	v_fma_f32 v93, v76, v40, -v72
	v_mul_f32_e32 v76, v76, v41
	v_mul_f32_e32 v72, v75, v43
	v_fmac_f32_e32 v76, v77, v40
	v_fma_f32 v77, v74, v42, -v72
	s_waitcnt vmcnt(2)
	v_mul_f32_e32 v72, v79, v45
	v_fma_f32 v95, v78, v44, -v72
	v_mul_f32_e32 v96, v78, v45
	s_waitcnt lgkmcnt(2)
	v_mul_f32_e32 v72, v81, v47
	v_fmac_f32_e32 v96, v79, v44
	v_fma_f32 v79, v80, v46, -v72
	s_waitcnt vmcnt(1) lgkmcnt(1)
	v_mul_f32_e32 v72, v57, v49
	v_fmac_f32_e32 v87, v73, v38
	v_fma_f32 v98, v56, v48, -v72
	v_mul_f32_e32 v99, v56, v49
	v_mul_f32_e32 v56, v83, v51
	s_waitcnt vmcnt(0)
	v_mul_f32_e32 v113, v58, v53
	v_fma_f32 v100, v82, v50, -v56
	v_mul_f32_e32 v56, v59, v53
	v_fmac_f32_e32 v113, v59, v52
	v_add_f32_e32 v59, v70, v87
	v_fmac_f32_e32 v99, v57, v48
	v_fma_f32 v102, v58, v52, -v56
	s_waitcnt lgkmcnt(0)
	v_mul_f32_e32 v56, v85, v55
	v_add_f32_e32 v57, v86, v71
	v_fma_f32 v73, -0.5, v59, v61
	v_fma_f32 v115, v84, v54, -v56
	v_add_f32_e32 v56, v60, v86
	v_fma_f32 v72, -0.5, v57, v60
	v_sub_f32_e32 v60, v86, v71
	v_mov_b32_e32 v59, v73
	v_fmac_f32_e32 v59, 0xbf5db3d7, v60
	v_fmac_f32_e32 v73, 0x3f5db3d7, v60
	v_add_f32_e32 v60, v62, v93
	v_mul_f32_e32 v94, v74, v43
	v_add_f32_e32 v74, v60, v77
	v_add_f32_e32 v60, v93, v77
	v_fmac_f32_e32 v94, v75, v42
	v_sub_f32_e32 v57, v70, v87
	v_mov_b32_e32 v58, v72
	v_fma_f32 v62, -0.5, v60, v62
	v_fmac_f32_e32 v58, 0x3f5db3d7, v57
	v_fmac_f32_e32 v72, 0xbf5db3d7, v57
	v_add_f32_e32 v57, v61, v70
	v_sub_f32_e32 v61, v76, v94
	v_mov_b32_e32 v60, v62
	v_fmac_f32_e32 v60, 0x3f5db3d7, v61
	v_fmac_f32_e32 v62, 0xbf5db3d7, v61
	v_add_f32_e32 v61, v63, v76
	v_add_f32_e32 v75, v61, v94
	;; [unrolled: 1-line block ×3, first 2 shown]
	v_fmac_f32_e32 v63, -0.5, v61
	v_sub_f32_e32 v70, v93, v77
	v_mov_b32_e32 v61, v63
	v_fmac_f32_e32 v61, 0xbf5db3d7, v70
	v_fmac_f32_e32 v63, 0x3f5db3d7, v70
	v_add_f32_e32 v70, v64, v95
	v_mul_f32_e32 v97, v80, v47
	v_add_f32_e32 v76, v70, v79
	v_add_f32_e32 v70, v95, v79
	v_fmac_f32_e32 v97, v81, v46
	v_fma_f32 v80, -0.5, v70, v64
	v_sub_f32_e32 v64, v96, v97
	v_mov_b32_e32 v78, v80
	v_fmac_f32_e32 v78, 0x3f5db3d7, v64
	v_fmac_f32_e32 v80, 0xbf5db3d7, v64
	v_add_f32_e32 v64, v65, v96
	v_add_f32_e32 v77, v64, v97
	;; [unrolled: 1-line block ×3, first 2 shown]
	v_fma_f32 v81, -0.5, v64, v65
	v_sub_f32_e32 v64, v95, v79
	v_mov_b32_e32 v79, v81
	v_fmac_f32_e32 v79, 0xbf5db3d7, v64
	v_fmac_f32_e32 v81, 0x3f5db3d7, v64
	v_add_f32_e32 v64, v66, v98
	v_mul_f32_e32 v101, v82, v51
	v_add_f32_e32 v82, v64, v100
	v_add_f32_e32 v64, v98, v100
	v_fmac_f32_e32 v101, v83, v50
	v_fma_f32 v66, -0.5, v64, v66
	v_sub_f32_e32 v65, v99, v101
	v_mov_b32_e32 v64, v66
	v_fmac_f32_e32 v64, 0x3f5db3d7, v65
	v_fmac_f32_e32 v66, 0xbf5db3d7, v65
	v_add_f32_e32 v65, v67, v99
	v_add_f32_e32 v83, v65, v101
	;; [unrolled: 1-line block ×3, first 2 shown]
	v_fmac_f32_e32 v67, -0.5, v65
	v_sub_f32_e32 v70, v98, v100
	v_mov_b32_e32 v65, v67
	v_fmac_f32_e32 v65, 0xbf5db3d7, v70
	v_fmac_f32_e32 v67, 0x3f5db3d7, v70
	v_add_f32_e32 v70, v68, v102
	v_mul_f32_e32 v116, v84, v55
	v_add_f32_e32 v84, v70, v115
	v_add_f32_e32 v70, v102, v115
	v_fmac_f32_e32 v116, v85, v54
	v_fma_f32 v68, -0.5, v70, v68
	v_sub_f32_e32 v70, v113, v116
	v_mov_b32_e32 v86, v68
	v_fmac_f32_e32 v86, 0x3f5db3d7, v70
	v_fmac_f32_e32 v68, 0xbf5db3d7, v70
	v_add_f32_e32 v70, v69, v113
	v_add_f32_e32 v85, v70, v116
	;; [unrolled: 1-line block ×3, first 2 shown]
	v_fmac_f32_e32 v69, -0.5, v70
	v_add_f32_e32 v57, v57, v87
	v_sub_f32_e32 v70, v102, v115
	v_mov_b32_e32 v87, v69
	v_lshl_add_u32 v115, v105, 3, v106
	v_fmac_f32_e32 v87, 0xbf5db3d7, v70
	v_fmac_f32_e32 v69, 0x3f5db3d7, v70
	v_add_u32_e32 v70, 0x400, v115
	v_lshlrev_b32_e32 v113, 3, v105
	v_add_f32_e32 v56, v56, v71
	ds_write2_b64 v70, v[58:59], v[60:61] offset0:127 offset1:178
	v_add_u32_e32 v70, 0xc00, v115
	v_add_u32_e32 v93, v113, v106
	ds_write2_b64 v115, v[56:57], v[74:75] offset1:51
	ds_write2_b64 v70, v[72:73], v[62:63] offset0:126 offset1:177
	ds_write_b64 v115, v[76:77] offset:816
	ds_write_b64 v93, v[78:79] offset:2856
	;; [unrolled: 1-line block ×9, first 2 shown]
	s_waitcnt lgkmcnt(0)
	s_barrier
	s_and_saveexec_b64 s[2:3], s[0:1]
	s_cbranch_execz .LBB0_9
; %bb.8:
	v_mov_b32_e32 v70, s9
	v_add_co_u32_e32 v96, vcc, s8, v103
	v_addc_co_u32_e32 v97, vcc, 0, v70, vcc
	v_add_co_u32_e32 v70, vcc, 0x17e8, v96
	v_addc_co_u32_e32 v71, vcc, 0, v97, vcc
	global_load_dwordx2 v[132:133], v[70:71], off offset:360
	global_load_dwordx2 v[134:135], v[70:71], off offset:720
	;; [unrolled: 1-line block ×6, first 2 shown]
	v_add_co_u32_e32 v94, vcc, 0x1000, v96
	global_load_dwordx2 v[144:145], v[70:71], off offset:2520
	global_load_dwordx2 v[146:147], v[70:71], off offset:2880
	;; [unrolled: 1-line block ×3, first 2 shown]
	v_addc_co_u32_e32 v95, vcc, 0, v97, vcc
	global_load_dwordx2 v[150:151], v[94:95], off offset:2024
	global_load_dwordx2 v[152:153], v[70:71], off offset:3600
	s_nop 0
	global_load_dwordx2 v[70:71], v[70:71], off offset:3960
	s_movk_i32 s12, 0x2000
	v_add_co_u32_e32 v120, vcc, s12, v96
	v_addc_co_u32_e32 v121, vcc, 0, v97, vcc
	global_load_dwordx2 v[154:155], v[120:121], off offset:2248
	global_load_dwordx2 v[156:157], v[120:121], off offset:2608
	global_load_dwordx2 v[158:159], v[120:121], off offset:2968
	global_load_dwordx2 v[160:161], v[120:121], off offset:3328
	ds_read2_b64 v[94:97], v115 offset1:45
	ds_read2_b64 v[98:101], v115 offset0:90 offset1:135
	ds_read2_b64 v[116:119], v115 offset0:180 offset1:225
	global_load_dwordx2 v[162:163], v[120:121], off offset:3688
	v_add_u32_e32 v166, 0x800, v115
	ds_read2_b64 v[120:123], v166 offset0:14 offset1:59
	ds_read2_b64 v[124:127], v166 offset0:104 offset1:149
	ds_read2_b64 v[128:131], v166 offset0:194 offset1:239
	s_waitcnt vmcnt(16) lgkmcnt(5)
	v_mul_f32_e32 v164, v97, v133
	v_mul_f32_e32 v165, v96, v133
	s_waitcnt vmcnt(15) lgkmcnt(4)
	v_mul_f32_e32 v167, v99, v135
	v_mul_f32_e32 v133, v98, v135
	s_waitcnt vmcnt(14)
	v_mul_f32_e32 v168, v101, v137
	v_mul_f32_e32 v135, v100, v137
	s_waitcnt vmcnt(13) lgkmcnt(3)
	v_mul_f32_e32 v102, v116, v139
	v_mul_f32_e32 v169, v117, v139
	s_waitcnt vmcnt(12)
	v_mul_f32_e32 v170, v119, v141
	v_mul_f32_e32 v137, v118, v141
	s_waitcnt vmcnt(11) lgkmcnt(2)
	v_mul_f32_e32 v171, v121, v143
	v_mul_f32_e32 v139, v120, v143
	s_waitcnt vmcnt(10)
	v_mul_f32_e32 v172, v123, v145
	v_mul_f32_e32 v141, v122, v145
	s_waitcnt vmcnt(9) lgkmcnt(1)
	v_mul_f32_e32 v173, v125, v147
	v_mul_f32_e32 v143, v124, v147
	s_waitcnt vmcnt(8)
	v_mul_f32_e32 v174, v127, v149
	v_mul_f32_e32 v145, v126, v149
	s_waitcnt vmcnt(7)
	v_mul_f32_e32 v149, v95, v151
	v_mul_f32_e32 v147, v94, v151
	v_fma_f32 v164, v96, v132, -v164
	v_fmac_f32_e32 v165, v97, v132
	v_fma_f32 v132, v98, v134, -v167
	v_fmac_f32_e32 v133, v99, v134
	;; [unrolled: 2-line block ×3, first 2 shown]
	v_fmac_f32_e32 v102, v117, v138
	v_fma_f32 v101, v116, v138, -v169
	v_fma_f32 v136, v118, v140, -v170
	v_fmac_f32_e32 v137, v119, v140
	v_fma_f32 v138, v120, v142, -v171
	v_fmac_f32_e32 v139, v121, v142
	;; [unrolled: 2-line block ×5, first 2 shown]
	ds_write2_b64 v115, v[132:133], v[134:135] offset0:90 offset1:135
	ds_write2_b64 v115, v[101:102], v[136:137] offset0:180 offset1:225
	;; [unrolled: 1-line block ×3, first 2 shown]
	ds_write2_b64 v115, v[146:147], v[164:165] offset1:45
	s_waitcnt vmcnt(6) lgkmcnt(4)
	v_mul_f32_e32 v94, v129, v153
	v_add_u32_e32 v102, 0x1000, v115
	v_fma_f32 v98, v128, v152, -v94
	ds_read2_b64 v[94:97], v102 offset0:28 offset1:73
	v_mul_f32_e32 v99, v128, v153
	s_waitcnt vmcnt(5)
	v_mul_f32_e32 v100, v131, v71
	v_mul_f32_e32 v101, v130, v71
	v_fmac_f32_e32 v99, v129, v152
	v_fma_f32 v100, v130, v70, -v100
	v_fmac_f32_e32 v101, v131, v70
	s_waitcnt vmcnt(4) lgkmcnt(0)
	v_mul_f32_e32 v70, v95, v155
	v_mul_f32_e32 v71, v94, v155
	ds_write2_b64 v166, v[98:99], v[100:101] offset0:194 offset1:239
	v_fma_f32 v70, v94, v154, -v70
	v_fmac_f32_e32 v71, v95, v154
	s_waitcnt vmcnt(3)
	v_mul_f32_e32 v94, v97, v157
	ds_read2_b64 v[98:101], v102 offset0:118 offset1:163
	v_mul_f32_e32 v95, v96, v157
	v_fma_f32 v94, v96, v156, -v94
	v_fmac_f32_e32 v95, v97, v156
	ds_write2_b64 v102, v[70:71], v[94:95] offset0:28 offset1:73
	ds_read_b64 v[94:95], v115 offset:5760
	s_waitcnt vmcnt(2) lgkmcnt(2)
	v_mul_f32_e32 v70, v99, v159
	v_mul_f32_e32 v71, v98, v159
	s_waitcnt vmcnt(1)
	v_mul_f32_e32 v96, v101, v161
	v_mul_f32_e32 v97, v100, v161
	v_fma_f32 v70, v98, v158, -v70
	v_fmac_f32_e32 v71, v99, v158
	v_fma_f32 v96, v100, v160, -v96
	v_fmac_f32_e32 v97, v101, v160
	ds_write2_b64 v102, v[70:71], v[96:97] offset0:118 offset1:163
	s_waitcnt vmcnt(0) lgkmcnt(1)
	v_mul_f32_e32 v70, v95, v163
	v_mul_f32_e32 v71, v94, v163
	v_fma_f32 v144, v126, v148, -v174
	v_fmac_f32_e32 v145, v127, v148
	v_fma_f32 v70, v94, v162, -v70
	v_fmac_f32_e32 v71, v95, v162
	ds_write2_b64 v166, v[142:143], v[144:145] offset0:104 offset1:149
	ds_write_b64 v115, v[70:71] offset:5760
.LBB0_9:
	s_or_b64 exec, exec, s[2:3]
	s_waitcnt lgkmcnt(0)
	s_barrier
	s_and_saveexec_b64 s[2:3], s[0:1]
	s_cbranch_execz .LBB0_11
; %bb.10:
	v_add_u32_e32 v64, 0x800, v115
	ds_read2_b64 v[56:59], v115 offset1:45
	ds_read2_b64 v[72:75], v115 offset0:90 offset1:135
	ds_read2_b64 v[60:63], v115 offset0:180 offset1:225
	;; [unrolled: 1-line block ×5, first 2 shown]
	v_add_u32_e32 v84, 0x1000, v115
	ds_read2_b64 v[68:71], v84 offset0:118 offset1:163
	ds_read2_b64 v[84:87], v84 offset0:28 offset1:73
	ds_read_b64 v[89:90], v115 offset:5760
	s_waitcnt lgkmcnt(2)
	v_mov_b32_e32 v91, v70
	v_mov_b32_e32 v92, v71
.LBB0_11:
	s_or_b64 exec, exec, s[2:3]
	v_add_u32_e32 v95, 0x330, v93
	v_add_u32_e32 v94, 0x4c8, v93
	;; [unrolled: 1-line block ×3, first 2 shown]
	s_waitcnt lgkmcnt(0)
	s_barrier
	s_and_saveexec_b64 s[2:3], s[0:1]
	s_cbranch_execz .LBB0_13
; %bb.12:
	v_add_f32_e32 v161, v90, v59
	v_mul_f32_e32 v135, 0xbf7ba420, v161
	v_add_f32_e32 v162, v92, v73
	v_sub_f32_e32 v119, v58, v89
	v_mov_b32_e32 v70, v135
	v_mul_f32_e32 v136, 0x3f6eb680, v162
	v_fmac_f32_e32 v70, 0x3e3c28d5, v119
	v_sub_f32_e32 v120, v72, v91
	v_mov_b32_e32 v71, v136
	v_add_f32_e32 v163, v69, v75
	v_add_f32_e32 v70, v57, v70
	v_fmac_f32_e32 v71, 0xbeb8f4ab, v120
	v_mul_f32_e32 v137, 0xbf59a7d5, v163
	v_add_f32_e32 v70, v71, v70
	v_sub_f32_e32 v121, v74, v68
	v_mov_b32_e32 v71, v137
	v_add_f32_e32 v164, v87, v61
	v_fmac_f32_e32 v71, 0x3f06c442, v121
	v_mul_f32_e32 v138, 0x3f3d2fb0, v164
	v_add_f32_e32 v70, v71, v70
	v_sub_f32_e32 v122, v60, v86
	v_mov_b32_e32 v71, v138
	v_add_f32_e32 v165, v85, v63
	v_fmac_f32_e32 v71, 0xbf2c7751, v122
	v_mul_f32_e32 v139, 0xbf1a4643, v165
	v_add_f32_e32 v70, v71, v70
	v_sub_f32_e32 v123, v62, v84
	v_mov_b32_e32 v71, v139
	v_add_f32_e32 v166, v67, v77
	v_fmac_f32_e32 v71, 0x3f4c4adb, v123
	v_mul_f32_e32 v140, 0x3ee437d1, v166
	v_add_f32_e32 v70, v71, v70
	v_sub_f32_e32 v124, v76, v66
	v_mov_b32_e32 v71, v140
	v_add_f32_e32 v167, v65, v79
	v_fmac_f32_e32 v71, 0xbf65296c, v124
	v_mul_f32_e32 v141, 0xbe8c1d8e, v167
	v_add_f32_e32 v70, v71, v70
	v_sub_f32_e32 v125, v78, v64
	v_mov_b32_e32 v71, v141
	v_add_f32_e32 v168, v83, v81
	v_fmac_f32_e32 v71, 0x3f763a35, v125
	v_mul_f32_e32 v142, 0x3dbcf732, v168
	v_add_f32_e32 v70, v71, v70
	v_sub_f32_e32 v126, v80, v82
	v_mov_b32_e32 v71, v142
	v_sub_f32_e32 v169, v59, v90
	v_fmac_f32_e32 v71, 0xbf7ee86f, v126
	v_mul_f32_e32 v143, 0xbe3c28d5, v169
	v_sub_f32_e32 v170, v73, v92
	v_add_f32_e32 v71, v71, v70
	v_add_f32_e32 v127, v89, v58
	v_mov_b32_e32 v70, v143
	v_mul_f32_e32 v144, 0x3eb8f4ab, v170
	v_fmac_f32_e32 v70, 0xbf7ba420, v127
	v_add_f32_e32 v128, v91, v72
	buffer_store_dword v93, off, s[20:23], 0 offset:16 ; 4-byte Folded Spill
	v_mov_b32_e32 v93, v144
	v_sub_f32_e32 v171, v75, v69
	v_add_f32_e32 v70, v56, v70
	v_fmac_f32_e32 v93, 0x3f6eb680, v128
	v_mul_f32_e32 v145, 0xbf06c442, v171
	v_add_f32_e32 v70, v93, v70
	v_add_f32_e32 v129, v68, v74
	v_mov_b32_e32 v93, v145
	v_sub_f32_e32 v172, v61, v87
	v_fmac_f32_e32 v93, 0xbf59a7d5, v129
	v_mul_f32_e32 v146, 0x3f2c7751, v172
	v_add_f32_e32 v70, v93, v70
	v_add_f32_e32 v130, v86, v60
	v_mov_b32_e32 v93, v146
	v_sub_f32_e32 v173, v63, v85
	;; [unrolled: 6-line block ×5, first 2 shown]
	v_fmac_f32_e32 v93, 0xbe8c1d8e, v133
	v_mul_f32_e32 v150, 0x3f7ee86f, v176
	v_add_f32_e32 v70, v93, v70
	v_add_f32_e32 v134, v82, v80
	v_mov_b32_e32 v93, v150
	v_fmac_f32_e32 v93, 0x3dbcf732, v134
	v_mul_f32_e32 v151, 0xbf59a7d5, v161
	v_add_f32_e32 v70, v93, v70
	v_mov_b32_e32 v93, v151
	v_mul_f32_e32 v152, 0x3ee437d1, v162
	buffer_store_dword v70, off, s[20:23], 0 offset:28 ; 4-byte Folded Spill
	s_nop 0
	buffer_store_dword v71, off, s[20:23], 0 offset:32 ; 4-byte Folded Spill
	v_fmac_f32_e32 v93, 0x3f06c442, v119
	buffer_store_dword v94, off, s[20:23], 0 offset:20 ; 4-byte Folded Spill
	v_mov_b32_e32 v94, v152
	v_add_f32_e32 v93, v57, v93
	v_fmac_f32_e32 v94, 0xbf65296c, v120
	v_mul_f32_e32 v153, 0x3dbcf732, v163
	v_add_f32_e32 v93, v94, v93
	v_mov_b32_e32 v94, v153
	v_fmac_f32_e32 v94, 0x3f7ee86f, v121
	v_mul_f32_e32 v154, 0xbf1a4643, v164
	v_add_f32_e32 v93, v94, v93
	v_mov_b32_e32 v94, v154
	;; [unrolled: 4-line block ×7, first 2 shown]
	v_mul_f32_e32 v178, 0x3f65296c, v170
	v_fmac_f32_e32 v93, 0xbf59a7d5, v127
	buffer_store_dword v95, off, s[20:23], 0 offset:24 ; 4-byte Folded Spill
	v_mov_b32_e32 v95, v178
	v_add_f32_e32 v93, v56, v93
	v_fmac_f32_e32 v95, 0x3ee437d1, v128
	v_mul_f32_e32 v179, 0xbf7ee86f, v171
	v_add_f32_e32 v93, v95, v93
	v_mov_b32_e32 v95, v179
	v_fmac_f32_e32 v95, 0x3dbcf732, v129
	v_mul_f32_e32 v180, 0x3f4c4adb, v172
	v_add_f32_e32 v93, v95, v93
	v_mov_b32_e32 v95, v180
	v_fmac_f32_e32 v95, 0xbf1a4643, v130
	v_mul_f32_e32 v181, 0xbeb8f4ab, v173
	v_add_f32_e32 v93, v95, v93
	v_mov_b32_e32 v95, v181
	v_fmac_f32_e32 v95, 0x3f6eb680, v131
	v_mul_f32_e32 v182, 0xbe3c28d5, v174
	v_add_f32_e32 v93, v95, v93
	v_mov_b32_e32 v95, v182
	v_fmac_f32_e32 v95, 0xbf7ba420, v132
	v_mul_f32_e32 v183, 0x3f2c7751, v175
	v_add_f32_e32 v93, v95, v93
	v_mov_b32_e32 v95, v183
	v_fmac_f32_e32 v95, 0x3f3d2fb0, v133
	v_mul_f32_e32 v184, 0xbf763a35, v176
	v_add_f32_e32 v93, v95, v93
	v_mov_b32_e32 v95, v184
	v_fmac_f32_e32 v95, 0xbe8c1d8e, v134
	v_mul_f32_e32 v185, 0xbf1a4643, v161
	v_add_f32_e32 v70, v95, v93
	v_mov_b32_e32 v95, v185
	v_mul_f32_e32 v186, 0xbe8c1d8e, v162
	v_fmac_f32_e32 v95, 0x3f4c4adb, v119
	v_mov_b32_e32 v96, v186
	v_add_f32_e32 v95, v57, v95
	v_fmac_f32_e32 v96, 0xbf763a35, v120
	v_mul_f32_e32 v187, 0x3f6eb680, v163
	v_add_f32_e32 v95, v96, v95
	v_mov_b32_e32 v96, v187
	v_fmac_f32_e32 v96, 0x3eb8f4ab, v121
	v_mul_f32_e32 v188, 0xbf59a7d5, v164
	v_add_f32_e32 v95, v96, v95
	v_mov_b32_e32 v96, v188
	v_fmac_f32_e32 v96, 0x3f06c442, v122
	v_mul_f32_e32 v189, 0x3dbcf732, v165
	v_add_f32_e32 v95, v96, v95
	v_mov_b32_e32 v96, v189
	v_fmac_f32_e32 v96, 0xbf7ee86f, v123
	v_mul_f32_e32 v190, 0x3f3d2fb0, v166
	v_add_f32_e32 v95, v96, v95
	v_mov_b32_e32 v96, v190
	v_fmac_f32_e32 v96, 0x3f2c7751, v124
	v_mul_f32_e32 v191, 0xbf7ba420, v167
	v_add_f32_e32 v95, v96, v95
	v_mov_b32_e32 v96, v191
	v_fmac_f32_e32 v96, 0x3e3c28d5, v125
	v_mul_f32_e32 v192, 0x3ee437d1, v168
	v_add_f32_e32 v95, v96, v95
	v_mov_b32_e32 v96, v192
	v_fmac_f32_e32 v96, 0xbf65296c, v126
	v_mul_f32_e32 v193, 0xbf4c4adb, v169
	v_add_f32_e32 v96, v96, v95
	v_mov_b32_e32 v95, v193
	v_mul_f32_e32 v194, 0x3f763a35, v170
	v_fmac_f32_e32 v95, 0xbf1a4643, v127
	;; [unrolled: 32-line block ×8, first 2 shown]
	v_mov_b32_e32 v159, v242
	v_add_f32_e32 v101, v56, v101
	v_fmac_f32_e32 v159, 0xbf1a4643, v128
	v_mul_f32_e32 v243, 0x3e3c28d5, v171
	v_add_f32_e32 v101, v159, v101
	v_mov_b32_e32 v159, v243
	v_fmac_f32_e32 v159, 0xbf7ba420, v129
	v_mul_f32_e32 v244, 0x3f763a35, v172
	v_add_f32_e32 v101, v159, v101
	v_mov_b32_e32 v159, v244
	v_fmac_f32_e32 v159, 0xbe8c1d8e, v130
	v_mul_f32_e32 v245, 0x3f2c7751, v173
	v_add_f32_e32 v58, v58, v56
	v_add_f32_e32 v101, v159, v101
	v_mov_b32_e32 v159, v245
	v_add_f32_e32 v58, v72, v58
	v_fmac_f32_e32 v159, 0x3f3d2fb0, v131
	v_mul_f32_e32 v246, 0xbeb8f4ab, v174
	v_add_f32_e32 v58, v74, v58
	v_fmac_f32_e32 v135, 0xbe3c28d5, v119
	v_add_f32_e32 v101, v159, v101
	v_mov_b32_e32 v159, v246
	v_add_f32_e32 v58, v60, v58
	v_add_f32_e32 v60, v57, v135
	v_fmac_f32_e32 v136, 0x3eb8f4ab, v120
	v_fmac_f32_e32 v159, 0x3f6eb680, v132
	v_mul_f32_e32 v247, 0xbf7ee86f, v175
	v_add_f32_e32 v60, v136, v60
	v_fmac_f32_e32 v137, 0xbf06c442, v121
	v_add_f32_e32 v101, v159, v101
	v_mov_b32_e32 v159, v247
	v_add_f32_e32 v60, v137, v60
	v_fmac_f32_e32 v138, 0x3f2c7751, v122
	v_fmac_f32_e32 v159, 0x3dbcf732, v133
	v_mul_f32_e32 v248, 0xbf06c442, v176
	v_add_f32_e32 v60, v138, v60
	v_fmac_f32_e32 v139, 0xbf4c4adb, v123
	v_add_f32_e32 v101, v159, v101
	v_mov_b32_e32 v159, v248
	v_add_f32_e32 v59, v59, v57
	v_add_f32_e32 v60, v139, v60
	v_fmac_f32_e32 v140, 0x3f65296c, v124
	v_fmac_f32_e32 v159, 0xbf59a7d5, v134
	v_mul_f32_e32 v249, 0x3f3d2fb0, v161
	v_add_f32_e32 v59, v73, v59
	v_add_f32_e32 v60, v140, v60
	v_fmac_f32_e32 v141, 0xbf763a35, v125
	s_mov_b32 s12, 0xbf7ba420
	v_add_f32_e32 v101, v159, v101
	v_mov_b32_e32 v159, v249
	v_mul_f32_e32 v250, 0x3dbcf732, v162
	v_add_f32_e32 v59, v75, v59
	v_add_f32_e32 v60, v141, v60
	v_fmac_f32_e32 v142, 0x3f7ee86f, v126
	s_mov_b32 s14, 0x3f6eb680
	v_fmac_f32_e32 v159, 0x3f2c7751, v119
	v_mov_b32_e32 v160, v250
	v_add_f32_e32 v59, v61, v59
	v_add_f32_e32 v61, v142, v60
	v_fma_f32 v60, v127, s12, -v143
	s_mov_b32 s13, 0xbf59a7d5
	v_add_f32_e32 v159, v57, v159
	v_fmac_f32_e32 v160, 0x3f7ee86f, v120
	v_mul_f32_e32 v251, 0xbf1a4643, v163
	v_add_f32_e32 v58, v62, v58
	v_add_f32_e32 v60, v56, v60
	v_fma_f32 v62, v128, s14, -v144
	s_mov_b32 s16, 0x3f3d2fb0
	v_add_f32_e32 v159, v160, v159
	v_mov_b32_e32 v160, v251
	v_add_f32_e32 v60, v62, v60
	v_fma_f32 v62, v129, s13, -v145
	s_mov_b32 s15, 0xbf1a4643
	v_fmac_f32_e32 v160, 0x3f4c4adb, v121
	v_mul_f32_e32 v252, 0xbf7ba420, v164
	v_add_f32_e32 v60, v62, v60
	v_fma_f32 v62, v130, s16, -v146
	s_mov_b32 s17, 0x3ee437d1
	v_add_f32_e32 v159, v160, v159
	v_mov_b32_e32 v160, v252
	v_add_f32_e32 v60, v62, v60
	v_fma_f32 v62, v131, s15, -v147
	v_fmac_f32_e32 v160, 0x3e3c28d5, v122
	v_mul_f32_e32 v253, 0xbf59a7d5, v165
	v_add_f32_e32 v60, v62, v60
	v_fma_f32 v62, v132, s17, -v148
	s_mov_b32 s19, 0x3dbcf732
	v_add_f32_e32 v159, v160, v159
	v_mov_b32_e32 v160, v253
	v_add_f32_e32 v60, v62, v60
	v_fma_f32 v62, v133, s18, -v149
	v_fmac_f32_e32 v160, 0xbf06c442, v123
	v_mul_f32_e32 v254, 0xbe8c1d8e, v166
	v_add_f32_e32 v60, v62, v60
	v_fma_f32 v62, v134, s19, -v150
	v_fmac_f32_e32 v151, 0xbf06c442, v119
	v_add_f32_e32 v159, v160, v159
	v_mov_b32_e32 v160, v254
	v_add_f32_e32 v60, v62, v60
	v_add_f32_e32 v62, v57, v151
	v_fmac_f32_e32 v152, 0x3f65296c, v120
	v_fmac_f32_e32 v160, 0xbf763a35, v124
	v_mul_f32_e32 v255, 0x3ee437d1, v167
	v_add_f32_e32 v62, v152, v62
	v_fmac_f32_e32 v153, 0xbf7ee86f, v121
	v_add_f32_e32 v159, v160, v159
	v_mov_b32_e32 v160, v255
	v_add_f32_e32 v62, v153, v62
	v_fmac_f32_e32 v154, 0x3f4c4adb, v122
	buffer_store_dword v70, off, s[20:23], 0 offset:36 ; 4-byte Folded Spill
	s_nop 0
	buffer_store_dword v71, off, s[20:23], 0 offset:40 ; 4-byte Folded Spill
	v_fmac_f32_e32 v160, 0xbf65296c, v125
	buffer_store_dword v106, off, s[20:23], 0 offset:44 ; 4-byte Folded Spill
	v_mul_f32_e32 v106, 0x3f6eb680, v168
	v_add_f32_e32 v62, v154, v62
	v_fmac_f32_e32 v155, 0xbeb8f4ab, v123
	v_add_f32_e32 v159, v160, v159
	v_mov_b32_e32 v160, v106
	v_add_f32_e32 v58, v76, v58
	v_add_f32_e32 v62, v155, v62
	v_fmac_f32_e32 v156, 0xbe3c28d5, v124
	v_fmac_f32_e32 v160, 0xbeb8f4ab, v126
	v_mul_f32_e32 v113, 0xbf2c7751, v169
	v_add_f32_e32 v58, v78, v58
	v_add_f32_e32 v62, v156, v62
	v_fmac_f32_e32 v157, 0x3f2c7751, v125
	v_add_f32_e32 v160, v160, v159
	v_mov_b32_e32 v159, v113
	v_mul_f32_e32 v117, 0xbf7ee86f, v170
	v_add_f32_e32 v58, v80, v58
	v_add_f32_e32 v62, v157, v62
	v_fmac_f32_e32 v158, 0xbf763a35, v126
	v_fmac_f32_e32 v159, 0x3f3d2fb0, v127
	v_mov_b32_e32 v116, v117
	v_add_f32_e32 v59, v63, v59
	v_add_f32_e32 v58, v82, v58
	;; [unrolled: 1-line block ×3, first 2 shown]
	v_fma_f32 v62, v127, s13, -v177
	v_add_f32_e32 v159, v56, v159
	v_fmac_f32_e32 v116, 0x3dbcf732, v128
	v_mul_f32_e32 v118, 0xbf4c4adb, v171
	v_add_f32_e32 v58, v64, v58
	v_add_f32_e32 v62, v56, v62
	v_fma_f32 v64, v128, s17, -v178
	v_add_f32_e32 v116, v116, v159
	v_mov_b32_e32 v159, v118
	v_add_f32_e32 v62, v64, v62
	v_fma_f32 v64, v129, s19, -v179
	v_fmac_f32_e32 v159, 0xbf1a4643, v129
	buffer_store_dword v104, off, s[20:23], 0 ; 4-byte Folded Spill
	v_mul_f32_e32 v104, 0xbe3c28d5, v172
	v_add_f32_e32 v62, v64, v62
	v_fma_f32 v64, v130, s15, -v180
	v_add_f32_e32 v116, v159, v116
	v_mov_b32_e32 v159, v104
	v_add_f32_e32 v62, v64, v62
	v_fma_f32 v64, v131, s14, -v181
	v_fmac_f32_e32 v159, 0xbf7ba420, v130
	buffer_store_dword v108, off, s[20:23], 0 offset:4 ; 4-byte Folded Spill
	v_mul_f32_e32 v108, 0x3f06c442, v173
	v_add_f32_e32 v62, v64, v62
	v_fma_f32 v64, v132, s12, -v182
	v_add_f32_e32 v116, v159, v116
	v_mov_b32_e32 v159, v108
	v_add_f32_e32 v62, v64, v62
	v_fma_f32 v64, v133, s16, -v183
	v_fmac_f32_e32 v159, 0xbf59a7d5, v131
	buffer_store_dword v109, off, s[20:23], 0 offset:8 ; 4-byte Folded Spill
	v_mul_f32_e32 v109, 0x3f763a35, v174
	v_add_f32_e32 v62, v64, v62
	v_fma_f32 v64, v134, s18, -v184
	v_fmac_f32_e32 v185, 0xbf4c4adb, v119
	v_add_f32_e32 v116, v159, v116
	v_mov_b32_e32 v159, v109
	v_add_f32_e32 v62, v64, v62
	v_add_f32_e32 v64, v57, v185
	v_fmac_f32_e32 v186, 0x3f763a35, v120
	v_fmac_f32_e32 v159, 0xbe8c1d8e, v132
	buffer_store_dword v110, off, s[20:23], 0 offset:12 ; 4-byte Folded Spill
	v_mul_f32_e32 v110, 0x3f65296c, v175
	v_add_f32_e32 v64, v186, v64
	v_fmac_f32_e32 v187, 0xbeb8f4ab, v121
	v_add_f32_e32 v116, v159, v116
	v_mov_b32_e32 v159, v110
	v_add_f32_e32 v64, v187, v64
	v_fmac_f32_e32 v188, 0xbf06c442, v122
	v_fmac_f32_e32 v159, 0x3ee437d1, v133
	v_mov_b32_e32 v93, v111
	v_mul_f32_e32 v111, 0x3eb8f4ab, v176
	v_add_f32_e32 v59, v77, v59
	v_add_f32_e32 v64, v188, v64
	v_fmac_f32_e32 v189, 0x3f7ee86f, v123
	v_add_f32_e32 v116, v159, v116
	v_mov_b32_e32 v159, v111
	v_add_f32_e32 v59, v79, v59
	v_add_f32_e32 v64, v189, v64
	v_fmac_f32_e32 v190, 0xbf2c7751, v124
	v_fmac_f32_e32 v159, 0x3f6eb680, v134
	v_add_f32_e32 v59, v81, v59
	v_add_f32_e32 v64, v190, v64
	v_fmac_f32_e32 v191, 0xbe3c28d5, v125
	v_add_f32_e32 v159, v159, v116
	v_mul_f32_e32 v116, 0x3f6eb680, v161
	v_add_f32_e32 v59, v83, v59
	v_add_f32_e32 v64, v191, v64
	v_fmac_f32_e32 v192, 0x3f65296c, v126
	v_mov_b32_e32 v161, v116
	v_mov_b32_e32 v94, v112
	v_mul_f32_e32 v112, 0x3f3d2fb0, v162
	v_add_f32_e32 v59, v65, v59
	v_add_f32_e32 v65, v192, v64
	v_fma_f32 v64, v127, s15, -v193
	v_fmac_f32_e32 v161, 0x3eb8f4ab, v119
	v_mov_b32_e32 v162, v112
	v_add_f32_e32 v58, v66, v58
	v_add_f32_e32 v64, v56, v64
	v_fma_f32 v66, v128, s18, -v194
	v_add_f32_e32 v161, v57, v161
	v_fmac_f32_e32 v162, 0x3f2c7751, v120
	v_mul_f32_e32 v163, 0x3ee437d1, v163
	v_add_f32_e32 v64, v66, v64
	v_fma_f32 v66, v129, s14, -v195
	v_add_f32_e32 v161, v162, v161
	v_mov_b32_e32 v162, v163
	v_add_f32_e32 v64, v66, v64
	v_fma_f32 v66, v130, s13, -v196
	v_fmac_f32_e32 v162, 0x3f65296c, v121
	v_mul_f32_e32 v164, 0x3dbcf732, v164
	v_add_f32_e32 v64, v66, v64
	v_fma_f32 v66, v131, s19, -v197
	v_add_f32_e32 v161, v162, v161
	v_mov_b32_e32 v162, v164
	v_add_f32_e32 v64, v66, v64
	v_fma_f32 v66, v132, s16, -v198
	;; [unrolled: 8-line block ×3, first 2 shown]
	v_fmac_f32_e32 v201, 0xbf763a35, v119
	v_fmac_f32_e32 v162, 0x3f763a35, v123
	v_mul_f32_e32 v166, 0xbf1a4643, v166
	v_add_f32_e32 v64, v66, v64
	v_add_f32_e32 v66, v57, v201
	v_fmac_f32_e32 v202, 0x3f06c442, v120
	v_add_f32_e32 v161, v162, v161
	v_mov_b32_e32 v162, v166
	v_add_f32_e32 v66, v202, v66
	v_fmac_f32_e32 v203, 0x3f2c7751, v121
	v_fmac_f32_e32 v162, 0x3f4c4adb, v124
	v_mul_f32_e32 v167, 0xbf59a7d5, v167
	v_add_f32_e32 v66, v203, v66
	v_fmac_f32_e32 v204, 0xbf65296c, v122
	v_add_f32_e32 v161, v162, v161
	v_mov_b32_e32 v162, v167
	v_add_f32_e32 v66, v204, v66
	v_fmac_f32_e32 v205, 0xbe3c28d5, v123
	v_fmac_f32_e32 v162, 0x3f06c442, v125
	v_mul_f32_e32 v168, 0xbf7ba420, v168
	;; [unrolled: 8-line block ×3, first 2 shown]
	v_add_f32_e32 v58, v84, v58
	v_add_f32_e32 v66, v207, v66
	v_fmac_f32_e32 v208, 0xbf4c4adb, v126
	v_add_f32_e32 v162, v162, v161
	v_mov_b32_e32 v161, v169
	v_mul_f32_e32 v70, 0xbf2c7751, v170
	v_add_f32_e32 v59, v67, v59
	v_add_f32_e32 v58, v86, v58
	;; [unrolled: 1-line block ×3, first 2 shown]
	v_fma_f32 v66, v127, s18, -v209
	v_fmac_f32_e32 v161, 0x3f6eb680, v127
	v_mov_b32_e32 v170, v70
	v_add_f32_e32 v58, v68, v58
	v_add_f32_e32 v66, v56, v66
	v_fma_f32 v68, v128, s13, -v210
	v_add_f32_e32 v161, v56, v161
	v_fmac_f32_e32 v170, 0x3f3d2fb0, v128
	v_add_f32_e32 v66, v68, v66
	v_fma_f32 v68, v129, s16, -v211
	v_add_f32_e32 v71, v170, v161
	v_mul_f32_e32 v170, 0xbf65296c, v171
	v_add_f32_e32 v66, v68, v66
	v_fma_f32 v68, v130, s17, -v212
	v_mov_b32_e32 v161, v170
	v_add_f32_e32 v66, v68, v66
	v_fma_f32 v68, v131, s12, -v213
	v_fmac_f32_e32 v161, 0x3ee437d1, v129
	v_mul_f32_e32 v171, 0xbf7ee86f, v172
	v_add_f32_e32 v66, v68, v66
	v_fma_f32 v68, v132, s19, -v214
	v_add_f32_e32 v71, v161, v71
	v_mov_b32_e32 v161, v171
	v_add_f32_e32 v66, v68, v66
	v_fma_f32 v68, v133, s14, -v215
	v_fmac_f32_e32 v161, 0x3dbcf732, v130
	v_mul_f32_e32 v172, 0xbf763a35, v173
	v_add_f32_e32 v66, v68, v66
	v_fma_f32 v68, v134, s15, -v216
	v_fmac_f32_e32 v217, 0xbf7ee86f, v119
	v_add_f32_e32 v71, v161, v71
	v_mov_b32_e32 v161, v172
	v_add_f32_e32 v66, v68, v66
	v_add_f32_e32 v68, v57, v217
	v_fmac_f32_e32 v218, 0xbe3c28d5, v120
	v_fmac_f32_e32 v161, 0xbe8c1d8e, v131
	v_mul_f32_e32 v173, 0xbf4c4adb, v174
	v_add_f32_e32 v68, v218, v68
	v_fmac_f32_e32 v219, 0x3f763a35, v121
	v_add_f32_e32 v71, v161, v71
	v_mov_b32_e32 v161, v173
	v_add_f32_e32 v68, v219, v68
	v_fmac_f32_e32 v220, 0x3eb8f4ab, v122
	v_fmac_f32_e32 v161, 0xbf1a4643, v132
	v_mul_f32_e32 v174, 0xbf06c442, v175
	v_add_f32_e32 v68, v220, v68
	v_fmac_f32_e32 v221, 0xbf65296c, v123
	v_add_f32_e32 v71, v161, v71
	v_mov_b32_e32 v161, v174
	v_add_f32_e32 v68, v221, v68
	v_fmac_f32_e32 v222, 0xbf06c442, v124
	v_fmac_f32_e32 v161, 0xbf59a7d5, v133
	v_mul_f32_e32 v175, 0xbe3c28d5, v176
	v_add_f32_e32 v59, v85, v59
	v_add_f32_e32 v68, v222, v68
	v_fmac_f32_e32 v223, 0x3f4c4adb, v125
	v_add_f32_e32 v71, v161, v71
	v_mov_b32_e32 v161, v175
	v_add_f32_e32 v59, v87, v59
	v_add_f32_e32 v68, v223, v68
	v_fmac_f32_e32 v224, 0x3f2c7751, v126
	v_fmac_f32_e32 v161, 0xbf7ba420, v134
	v_add_f32_e32 v59, v69, v59
	v_add_f32_e32 v69, v224, v68
	v_fma_f32 v68, v127, s19, -v225
	v_add_f32_e32 v161, v161, v71
	v_add_f32_e32 v68, v56, v68
	v_fma_f32 v71, v128, s12, -v226
	v_add_f32_e32 v68, v71, v68
	v_fma_f32 v71, v129, s18, -v227
	;; [unrolled: 2-line block ×7, first 2 shown]
	v_fmac_f32_e32 v233, 0xbf65296c, v119
	v_add_f32_e32 v68, v71, v68
	v_add_f32_e32 v71, v57, v233
	v_fmac_f32_e32 v234, 0xbf4c4adb, v120
	v_add_f32_e32 v71, v234, v71
	v_fmac_f32_e32 v235, 0x3e3c28d5, v121
	;; [unrolled: 2-line block ×7, first 2 shown]
	v_add_f32_e32 v73, v240, v71
	v_fma_f32 v71, v127, s17, -v241
	v_add_f32_e32 v71, v56, v71
	v_fma_f32 v72, v128, s15, -v242
	v_add_f32_e32 v71, v72, v71
	v_fma_f32 v72, v129, s12, -v243
	v_add_f32_e32 v71, v72, v71
	v_fma_f32 v72, v130, s18, -v244
	v_add_f32_e32 v71, v72, v71
	v_fma_f32 v72, v131, s16, -v245
	v_add_f32_e32 v71, v72, v71
	v_fma_f32 v72, v132, s14, -v246
	v_add_f32_e32 v71, v72, v71
	v_fma_f32 v72, v133, s19, -v247
	v_add_f32_e32 v71, v72, v71
	v_fma_f32 v72, v134, s13, -v248
	v_fmac_f32_e32 v249, 0xbf2c7751, v119
	v_add_f32_e32 v72, v72, v71
	v_add_f32_e32 v71, v57, v249
	v_fmac_f32_e32 v250, 0xbf7ee86f, v120
	v_add_f32_e32 v71, v250, v71
	v_fmac_f32_e32 v251, 0xbf4c4adb, v121
	;; [unrolled: 2-line block ×7, first 2 shown]
	v_add_f32_e32 v75, v106, v71
	v_fma_f32 v71, v127, s16, -v113
	v_add_f32_e32 v71, v56, v71
	v_fma_f32 v74, v128, s19, -v117
	;; [unrolled: 2-line block ×8, first 2 shown]
	v_fmac_f32_e32 v116, 0xbeb8f4ab, v119
	v_add_f32_e32 v74, v74, v71
	v_add_f32_e32 v57, v57, v116
	v_fmac_f32_e32 v112, 0xbf2c7751, v120
	v_fma_f32 v71, v127, s14, -v169
	buffer_load_dword v104, off, s[20:23], 0 ; 4-byte Folded Reload
	buffer_load_dword v108, off, s[20:23], 0 offset:4 ; 4-byte Folded Reload
	buffer_load_dword v109, off, s[20:23], 0 offset:8 ; 4-byte Folded Reload
	buffer_load_dword v110, off, s[20:23], 0 offset:12 ; 4-byte Folded Reload
	v_mov_b32_e32 v111, v93
	buffer_load_dword v93, off, s[20:23], 0 offset:16 ; 4-byte Folded Reload
	v_add_f32_e32 v57, v112, v57
	v_mov_b32_e32 v112, v94
	buffer_load_dword v94, off, s[20:23], 0 offset:20 ; 4-byte Folded Reload
	v_add_f32_e32 v56, v56, v71
	buffer_load_dword v71, off, s[20:23], 0 offset:44 ; 4-byte Folded Reload
	v_fma_f32 v70, v128, s16, -v70
	v_add_f32_e32 v56, v70, v56
	v_fma_f32 v70, v129, s17, -v170
	v_add_f32_e32 v56, v70, v56
	;; [unrolled: 2-line block ×7, first 2 shown]
	v_add_f32_e32 v58, v91, v58
	v_add_f32_e32 v56, v70, v56
	v_mul_lo_u16_e32 v70, 17, v105
	v_add_f32_e32 v59, v90, v59
	v_add_f32_e32 v58, v89, v58
	v_fmac_f32_e32 v163, 0xbf65296c, v121
	v_add_f32_e32 v57, v163, v57
	v_fmac_f32_e32 v164, 0xbf7ee86f, v122
	;; [unrolled: 2-line block ×5, first 2 shown]
	v_lshlrev_b32_e32 v113, 3, v105
	v_add_f32_e32 v57, v167, v57
	v_fmac_f32_e32 v168, 0xbe3c28d5, v126
	v_add_f32_e32 v57, v168, v57
	s_waitcnt vmcnt(0)
	v_lshl_add_u32 v70, v70, 3, v71
	ds_write2_b64 v70, v[58:59], v[161:162] offset1:1
	ds_write2_b64 v70, v[159:160], v[101:102] offset0:2 offset1:3
	ds_write2_b64 v70, v[99:100], v[97:98] offset0:4 offset1:5
	buffer_load_dword v58, off, s[20:23], 0 offset:36 ; 4-byte Folded Reload
	buffer_load_dword v59, off, s[20:23], 0 offset:40 ; 4-byte Folded Reload
	s_waitcnt vmcnt(0)
	ds_write2_b64 v70, v[95:96], v[58:59] offset0:6 offset1:7
	buffer_load_dword v95, off, s[20:23], 0 offset:24 ; 4-byte Folded Reload
	buffer_load_dword v58, off, s[20:23], 0 offset:28 ; 4-byte Folded Reload
	;; [unrolled: 1-line block ×3, first 2 shown]
	s_waitcnt vmcnt(0)
	ds_write2_b64 v70, v[58:59], v[60:61] offset0:8 offset1:9
	ds_write2_b64 v70, v[62:63], v[64:65] offset0:10 offset1:11
	;; [unrolled: 1-line block ×4, first 2 shown]
	ds_write_b64 v70, v[56:57] offset:128
.LBB0_13:
	s_or_b64 exec, exec, s[2:3]
	s_waitcnt lgkmcnt(0)
	s_barrier
	ds_read2_b64 v[59:62], v107 offset1:51
	ds_read2_b64 v[63:66], v107 offset0:204 offset1:255
	v_add_u32_e32 v57, 0xc00, v107
	ds_read2_b64 v[67:70], v57 offset0:126 offset1:177
	v_add_u32_e32 v56, 0x800, v107
	ds_read2_b64 v[71:74], v56 offset0:50 offset1:101
	ds_read2_b64 v[75:78], v107 offset0:102 offset1:153
	s_waitcnt lgkmcnt(3)
	v_mul_f32_e32 v87, v17, v66
	v_mul_f32_e32 v17, v17, v65
	v_add_u32_e32 v58, 0x1000, v107
	v_fmac_f32_e32 v87, v16, v65
	v_fma_f32 v16, v16, v66, -v17
	s_waitcnt lgkmcnt(2)
	v_mul_f32_e32 v17, v19, v68
	v_mul_f32_e32 v19, v19, v67
	ds_read2_b64 v[79:82], v58 offset0:100 offset1:151
	ds_read2_b64 v[83:86], v56 offset0:152 offset1:203
	ds_read_b64 v[89:90], v107 offset:5712
	v_fmac_f32_e32 v17, v18, v67
	v_fma_f32 v18, v18, v68, -v19
	s_waitcnt lgkmcnt(4)
	v_mul_f32_e32 v19, v13, v72
	v_mul_f32_e32 v13, v13, v71
	v_fmac_f32_e32 v19, v12, v71
	v_fma_f32 v12, v12, v72, -v13
	v_mul_f32_e32 v13, v15, v70
	v_mul_f32_e32 v15, v15, v69
	v_fmac_f32_e32 v13, v14, v69
	v_fma_f32 v14, v14, v70, -v15
	;; [unrolled: 4-line block ×3, first 2 shown]
	s_waitcnt lgkmcnt(2)
	v_mul_f32_e32 v0, v3, v79
	v_mul_f32_e32 v66, v3, v80
	v_fma_f32 v67, v2, v80, -v0
	s_waitcnt lgkmcnt(1)
	v_mul_f32_e32 v0, v5, v83
	v_add_f32_e32 v3, v16, v18
	v_fma_f32 v69, v4, v84, -v0
	v_mul_f32_e32 v70, v7, v82
	v_mul_f32_e32 v0, v7, v81
	v_fma_f32 v3, -0.5, v3, v60
	v_mul_f32_e32 v68, v5, v84
	v_fmac_f32_e32 v70, v6, v81
	v_fma_f32 v71, v6, v82, -v0
	v_sub_f32_e32 v6, v87, v17
	v_mov_b32_e32 v5, v3
	v_add_f32_e32 v7, v19, v13
	v_mul_f32_e32 v72, v9, v86
	v_mul_f32_e32 v0, v9, v85
	v_fmac_f32_e32 v5, 0x3f5db3d7, v6
	v_fmac_f32_e32 v3, 0xbf5db3d7, v6
	v_add_f32_e32 v6, v61, v19
	v_fma_f32 v61, -0.5, v7, v61
	v_fmac_f32_e32 v72, v8, v85
	v_fma_f32 v73, v8, v86, -v0
	s_waitcnt lgkmcnt(0)
	v_mul_f32_e32 v74, v11, v90
	v_mul_f32_e32 v0, v11, v89
	v_add_f32_e32 v1, v87, v17
	v_sub_f32_e32 v7, v12, v14
	v_mov_b32_e32 v8, v61
	v_add_f32_e32 v9, v12, v14
	v_fmac_f32_e32 v66, v2, v79
	v_fmac_f32_e32 v74, v10, v89
	v_fma_f32 v79, v10, v90, -v0
	v_fma_f32 v2, -0.5, v1, v59
	v_add_f32_e32 v6, v6, v13
	v_fmac_f32_e32 v8, 0xbf5db3d7, v7
	v_fmac_f32_e32 v61, 0x3f5db3d7, v7
	v_add_f32_e32 v7, v62, v12
	v_fmac_f32_e32 v62, -0.5, v9
	v_sub_f32_e32 v10, v19, v13
	v_add_f32_e32 v13, v65, v67
	v_fmac_f32_e32 v68, v4, v83
	v_add_f32_e32 v0, v59, v87
	v_sub_f32_e32 v1, v16, v18
	v_mov_b32_e32 v4, v2
	v_mov_b32_e32 v9, v62
	v_fma_f32 v13, -0.5, v13, v76
	v_add_f32_e32 v0, v0, v17
	v_fmac_f32_e32 v4, 0xbf5db3d7, v1
	v_fmac_f32_e32 v2, 0x3f5db3d7, v1
	v_add_f32_e32 v1, v60, v16
	v_fmac_f32_e32 v9, 0x3f5db3d7, v10
	v_fmac_f32_e32 v62, 0xbf5db3d7, v10
	v_add_f32_e32 v10, v75, v15
	v_add_f32_e32 v11, v15, v66
	v_sub_f32_e32 v16, v15, v66
	v_mov_b32_e32 v15, v13
	v_add_f32_e32 v17, v68, v70
	v_fmac_f32_e32 v15, 0x3f5db3d7, v16
	v_fmac_f32_e32 v13, 0xbf5db3d7, v16
	v_add_f32_e32 v16, v77, v68
	v_fma_f32 v77, -0.5, v17, v77
	v_add_f32_e32 v1, v1, v18
	v_sub_f32_e32 v17, v69, v71
	v_mov_b32_e32 v18, v77
	v_add_f32_e32 v19, v69, v71
	v_fmac_f32_e32 v18, 0xbf5db3d7, v17
	v_fmac_f32_e32 v77, 0x3f5db3d7, v17
	v_add_f32_e32 v17, v78, v69
	v_fmac_f32_e32 v78, -0.5, v19
	v_fma_f32 v12, -0.5, v11, v75
	v_sub_f32_e32 v59, v68, v70
	v_mov_b32_e32 v19, v78
	v_add_f32_e32 v60, v72, v74
	v_add_f32_e32 v7, v7, v14
	v_sub_f32_e32 v11, v65, v67
	v_mov_b32_e32 v14, v12
	v_fmac_f32_e32 v19, 0x3f5db3d7, v59
	v_fmac_f32_e32 v78, 0xbf5db3d7, v59
	v_add_f32_e32 v59, v63, v72
	v_fma_f32 v63, -0.5, v60, v63
	v_add_f32_e32 v10, v10, v66
	v_fmac_f32_e32 v14, 0xbf5db3d7, v11
	v_fmac_f32_e32 v12, 0x3f5db3d7, v11
	v_add_f32_e32 v11, v76, v65
	v_sub_f32_e32 v60, v73, v79
	v_mov_b32_e32 v65, v63
	v_add_f32_e32 v66, v73, v79
	v_fmac_f32_e32 v65, 0xbf5db3d7, v60
	v_fmac_f32_e32 v63, 0x3f5db3d7, v60
	v_add_f32_e32 v60, v64, v73
	v_fmac_f32_e32 v64, -0.5, v66
	v_add_f32_e32 v11, v11, v67
	v_sub_f32_e32 v67, v72, v74
	v_mov_b32_e32 v66, v64
	v_add_f32_e32 v16, v16, v70
	v_add_f32_e32 v17, v17, v71
	;; [unrolled: 1-line block ×4, first 2 shown]
	v_fmac_f32_e32 v66, 0x3f5db3d7, v67
	v_fmac_f32_e32 v64, 0xbf5db3d7, v67
	s_barrier
	ds_write2_b64 v108, v[0:1], v[4:5] offset1:17
	ds_write_b64 v108, v[2:3] offset:272
	ds_write2_b64 v109, v[6:7], v[8:9] offset1:17
	ds_write_b64 v109, v[61:62] offset:272
	;; [unrolled: 2-line block ×5, first 2 shown]
	s_waitcnt lgkmcnt(0)
	s_barrier
	ds_read2_b64 v[0:3], v107 offset1:51
	ds_read2_b64 v[4:7], v107 offset0:102 offset1:153
	ds_read2_b64 v[8:11], v56 offset0:50 offset1:101
	;; [unrolled: 1-line block ×6, first 2 shown]
	ds_read_b64 v[67:68], v107 offset:5712
	s_waitcnt lgkmcnt(6)
	v_mul_f32_e32 v69, v25, v7
	v_fmac_f32_e32 v69, v24, v6
	v_mul_f32_e32 v6, v25, v6
	v_fma_f32 v70, v24, v7, -v6
	s_waitcnt lgkmcnt(5)
	v_mul_f32_e32 v6, v27, v8
	v_fma_f32 v72, v26, v9, -v6
	s_waitcnt lgkmcnt(4)
	v_mul_f32_e32 v73, v21, v15
	v_mul_f32_e32 v6, v21, v14
	v_fmac_f32_e32 v73, v20, v14
	v_fma_f32 v14, v20, v15, -v6
	s_waitcnt lgkmcnt(3)
	v_mul_f32_e32 v15, v23, v17
	v_mul_f32_e32 v6, v23, v16
	;; [unrolled: 1-line block ×3, first 2 shown]
	v_fmac_f32_e32 v15, v22, v16
	v_fma_f32 v16, v22, v17, -v6
	s_waitcnt lgkmcnt(2)
	v_mul_f32_e32 v74, v25, v60
	v_mul_f32_e32 v6, v25, v59
	v_fmac_f32_e32 v71, v26, v8
	v_fmac_f32_e32 v74, v24, v59
	v_fma_f32 v24, v24, v60, -v6
	v_mul_f32_e32 v25, v27, v11
	v_mul_f32_e32 v6, v27, v10
	v_fmac_f32_e32 v25, v26, v10
	v_fma_f32 v26, v26, v11, -v6
	s_waitcnt lgkmcnt(1)
	v_mul_f32_e32 v6, v21, v63
	v_add_f32_e32 v7, v71, v73
	v_mul_f32_e32 v27, v21, v64
	v_fma_f32 v59, v20, v64, -v6
	v_mul_f32_e32 v21, v23, v19
	v_mul_f32_e32 v6, v23, v18
	v_fma_f32 v8, -0.5, v7, v0
	v_fmac_f32_e32 v21, v22, v18
	v_fma_f32 v22, v22, v19, -v6
	v_mul_f32_e32 v60, v33, v62
	v_mul_f32_e32 v6, v33, v61
	;; [unrolled: 1-line block ×3, first 2 shown]
	v_sub_f32_e32 v7, v70, v16
	v_mov_b32_e32 v10, v8
	v_fmac_f32_e32 v60, v32, v61
	v_fma_f32 v32, v32, v62, -v6
	v_fmac_f32_e32 v33, v34, v12
	v_mul_f32_e32 v6, v35, v12
	v_fmac_f32_e32 v10, 0xbf737871, v7
	v_sub_f32_e32 v9, v72, v14
	v_sub_f32_e32 v11, v69, v71
	;; [unrolled: 1-line block ×3, first 2 shown]
	v_fmac_f32_e32 v8, 0x3f737871, v7
	v_fma_f32 v34, v34, v13, -v6
	v_mul_f32_e32 v6, v29, v65
	v_fmac_f32_e32 v10, 0xbf167918, v9
	v_add_f32_e32 v11, v11, v12
	v_fmac_f32_e32 v8, 0x3f167918, v9
	v_mul_f32_e32 v35, v29, v66
	v_fma_f32 v61, v28, v66, -v6
	s_waitcnt lgkmcnt(0)
	v_mul_f32_e32 v29, v31, v68
	v_mul_f32_e32 v6, v31, v67
	v_fmac_f32_e32 v10, 0x3e9e377a, v11
	v_fmac_f32_e32 v8, 0x3e9e377a, v11
	v_add_f32_e32 v11, v69, v15
	v_fmac_f32_e32 v29, v30, v67
	v_fma_f32 v30, v30, v68, -v6
	v_add_f32_e32 v6, v0, v69
	v_fma_f32 v0, -0.5, v11, v0
	v_mov_b32_e32 v12, v0
	v_add_f32_e32 v6, v6, v71
	v_fmac_f32_e32 v12, 0x3f737871, v9
	v_sub_f32_e32 v11, v71, v69
	v_sub_f32_e32 v13, v73, v15
	v_fmac_f32_e32 v0, 0xbf737871, v9
	v_add_f32_e32 v9, v72, v14
	v_add_f32_e32 v6, v6, v73
	v_fmac_f32_e32 v12, 0xbf167918, v7
	v_add_f32_e32 v11, v11, v13
	v_fmac_f32_e32 v0, 0x3f167918, v7
	v_fma_f32 v9, -0.5, v9, v1
	v_add_f32_e32 v6, v6, v15
	v_fmac_f32_e32 v12, 0x3e9e377a, v11
	v_fmac_f32_e32 v0, 0x3e9e377a, v11
	v_sub_f32_e32 v15, v69, v15
	v_mov_b32_e32 v11, v9
	v_fmac_f32_e32 v11, 0x3f737871, v15
	v_sub_f32_e32 v17, v71, v73
	v_sub_f32_e32 v13, v70, v72
	;; [unrolled: 1-line block ×3, first 2 shown]
	v_fmac_f32_e32 v9, 0xbf737871, v15
	v_fmac_f32_e32 v11, 0x3f167918, v17
	v_add_f32_e32 v13, v13, v18
	v_fmac_f32_e32 v9, 0xbf167918, v17
	v_fmac_f32_e32 v11, 0x3e9e377a, v13
	;; [unrolled: 1-line block ×3, first 2 shown]
	v_add_f32_e32 v13, v70, v16
	v_add_f32_e32 v7, v1, v70
	v_fma_f32 v1, -0.5, v13, v1
	v_mov_b32_e32 v13, v1
	v_fmac_f32_e32 v27, v20, v63
	v_add_f32_e32 v7, v7, v72
	v_fmac_f32_e32 v13, 0xbf737871, v17
	v_fmac_f32_e32 v1, 0x3f737871, v17
	v_add_f32_e32 v7, v7, v14
	v_fmac_f32_e32 v13, 0x3f167918, v15
	v_fmac_f32_e32 v1, 0xbf167918, v15
	v_add_f32_e32 v15, v25, v27
	v_add_f32_e32 v7, v7, v16
	v_sub_f32_e32 v18, v72, v70
	v_sub_f32_e32 v14, v14, v16
	v_fma_f32 v16, -0.5, v15, v2
	v_add_f32_e32 v14, v18, v14
	v_sub_f32_e32 v15, v24, v22
	v_mov_b32_e32 v18, v16
	v_fmac_f32_e32 v18, 0xbf737871, v15
	v_sub_f32_e32 v17, v26, v59
	v_sub_f32_e32 v19, v74, v25
	;; [unrolled: 1-line block ×3, first 2 shown]
	v_fmac_f32_e32 v16, 0x3f737871, v15
	v_fmac_f32_e32 v18, 0xbf167918, v17
	v_add_f32_e32 v19, v19, v20
	v_fmac_f32_e32 v16, 0x3f167918, v17
	v_fmac_f32_e32 v18, 0x3e9e377a, v19
	;; [unrolled: 1-line block ×3, first 2 shown]
	v_add_f32_e32 v19, v74, v21
	v_fmac_f32_e32 v13, 0x3e9e377a, v14
	v_fmac_f32_e32 v1, 0x3e9e377a, v14
	v_add_f32_e32 v14, v2, v74
	v_fma_f32 v2, -0.5, v19, v2
	v_mov_b32_e32 v20, v2
	v_fmac_f32_e32 v20, 0x3f737871, v17
	v_sub_f32_e32 v19, v25, v74
	v_sub_f32_e32 v23, v27, v21
	v_fmac_f32_e32 v2, 0xbf737871, v17
	v_add_f32_e32 v17, v26, v59
	v_add_f32_e32 v14, v14, v25
	v_fmac_f32_e32 v20, 0xbf167918, v15
	v_add_f32_e32 v19, v19, v23
	v_fmac_f32_e32 v2, 0x3f167918, v15
	v_fma_f32 v17, -0.5, v17, v3
	v_add_f32_e32 v14, v14, v27
	v_fmac_f32_e32 v20, 0x3e9e377a, v19
	v_fmac_f32_e32 v2, 0x3e9e377a, v19
	v_sub_f32_e32 v23, v74, v21
	v_mov_b32_e32 v19, v17
	v_add_f32_e32 v14, v14, v21
	v_fmac_f32_e32 v19, 0x3f737871, v23
	v_sub_f32_e32 v25, v25, v27
	v_sub_f32_e32 v21, v24, v26
	;; [unrolled: 1-line block ×3, first 2 shown]
	v_fmac_f32_e32 v17, 0xbf737871, v23
	v_fmac_f32_e32 v19, 0x3f167918, v25
	v_add_f32_e32 v21, v21, v27
	v_fmac_f32_e32 v17, 0xbf167918, v25
	v_fmac_f32_e32 v19, 0x3e9e377a, v21
	;; [unrolled: 1-line block ×3, first 2 shown]
	v_add_f32_e32 v21, v24, v22
	v_add_f32_e32 v15, v3, v24
	v_fmac_f32_e32 v3, -0.5, v21
	v_add_f32_e32 v15, v15, v26
	v_mov_b32_e32 v21, v3
	v_fmac_f32_e32 v35, v28, v65
	v_add_f32_e32 v15, v15, v59
	v_fmac_f32_e32 v21, 0xbf737871, v25
	v_fmac_f32_e32 v3, 0x3f737871, v25
	v_add_f32_e32 v15, v15, v22
	v_fmac_f32_e32 v21, 0x3f167918, v23
	v_sub_f32_e32 v24, v26, v24
	v_sub_f32_e32 v22, v59, v22
	v_fmac_f32_e32 v3, 0xbf167918, v23
	v_add_f32_e32 v23, v33, v35
	v_add_f32_e32 v22, v24, v22
	v_fma_f32 v24, -0.5, v23, v4
	v_sub_f32_e32 v23, v32, v30
	v_mov_b32_e32 v26, v24
	v_fmac_f32_e32 v26, 0xbf737871, v23
	v_sub_f32_e32 v25, v34, v61
	v_sub_f32_e32 v27, v60, v33
	;; [unrolled: 1-line block ×3, first 2 shown]
	v_fmac_f32_e32 v24, 0x3f737871, v23
	v_fmac_f32_e32 v26, 0xbf167918, v25
	v_add_f32_e32 v27, v27, v28
	v_fmac_f32_e32 v24, 0x3f167918, v25
	v_fmac_f32_e32 v26, 0x3e9e377a, v27
	v_fmac_f32_e32 v24, 0x3e9e377a, v27
	v_add_f32_e32 v27, v60, v29
	v_fmac_f32_e32 v21, 0x3e9e377a, v22
	v_fmac_f32_e32 v3, 0x3e9e377a, v22
	v_add_f32_e32 v22, v4, v60
	v_fma_f32 v4, -0.5, v27, v4
	v_mov_b32_e32 v28, v4
	v_fmac_f32_e32 v28, 0x3f737871, v25
	v_sub_f32_e32 v27, v33, v60
	v_sub_f32_e32 v31, v35, v29
	v_fmac_f32_e32 v4, 0xbf737871, v25
	v_add_f32_e32 v25, v34, v61
	v_add_f32_e32 v22, v22, v33
	v_fmac_f32_e32 v28, 0xbf167918, v23
	v_add_f32_e32 v27, v27, v31
	v_fmac_f32_e32 v4, 0x3f167918, v23
	v_fma_f32 v25, -0.5, v25, v5
	v_add_f32_e32 v22, v22, v35
	v_fmac_f32_e32 v28, 0x3e9e377a, v27
	v_fmac_f32_e32 v4, 0x3e9e377a, v27
	v_sub_f32_e32 v31, v60, v29
	v_mov_b32_e32 v27, v25
	v_add_f32_e32 v22, v22, v29
	v_fmac_f32_e32 v27, 0x3f737871, v31
	v_sub_f32_e32 v33, v33, v35
	v_sub_f32_e32 v29, v32, v34
	;; [unrolled: 1-line block ×3, first 2 shown]
	v_fmac_f32_e32 v25, 0xbf737871, v31
	v_fmac_f32_e32 v27, 0x3f167918, v33
	v_add_f32_e32 v29, v29, v35
	v_fmac_f32_e32 v25, 0xbf167918, v33
	v_add_f32_e32 v23, v5, v32
	v_fmac_f32_e32 v27, 0x3e9e377a, v29
	v_fmac_f32_e32 v25, 0x3e9e377a, v29
	v_add_f32_e32 v29, v32, v30
	v_add_f32_e32 v23, v23, v34
	v_fmac_f32_e32 v5, -0.5, v29
	v_add_f32_e32 v23, v23, v61
	v_mov_b32_e32 v29, v5
	v_add_f32_e32 v23, v23, v30
	v_fmac_f32_e32 v29, 0xbf737871, v33
	v_sub_f32_e32 v32, v34, v32
	v_sub_f32_e32 v30, v61, v30
	v_fmac_f32_e32 v5, 0x3f737871, v33
	v_fmac_f32_e32 v29, 0x3f167918, v31
	v_add_f32_e32 v30, v32, v30
	v_fmac_f32_e32 v5, 0xbf167918, v31
	s_barrier
	ds_write2_b64 v107, v[6:7], v[10:11] offset1:51
	ds_write2_b64 v107, v[12:13], v[0:1] offset0:102 offset1:153
	ds_write2_b64 v107, v[8:9], v[14:15] offset0:204 offset1:255
	;; [unrolled: 1-line block ×4, first 2 shown]
	v_add_u32_e32 v0, 0xc00, v114
	v_fmac_f32_e32 v29, 0x3e9e377a, v30
	v_fmac_f32_e32 v5, 0x3e9e377a, v30
	ds_write2_b64 v0, v[22:23], v[26:27] offset0:126 offset1:177
	v_add_u32_e32 v0, 0x1000, v114
	ds_write2_b64 v0, v[28:29], v[4:5] offset0:100 offset1:151
	ds_write_b64 v114, v[24:25] offset:5712
	s_waitcnt lgkmcnt(0)
	s_barrier
	ds_read2_b64 v[0:3], v107 offset1:51
	ds_read2_b64 v[4:7], v107 offset0:204 offset1:255
	ds_read2_b64 v[8:11], v57 offset0:126 offset1:177
	;; [unrolled: 1-line block ×6, first 2 shown]
	ds_read_b64 v[28:29], v107 offset:5712
	s_waitcnt lgkmcnt(6)
	v_mul_f32_e32 v30, v37, v7
	v_fmac_f32_e32 v30, v36, v6
	v_mul_f32_e32 v6, v37, v6
	v_fma_f32 v31, v36, v7, -v6
	s_waitcnt lgkmcnt(5)
	v_mul_f32_e32 v6, v39, v8
	v_mul_f32_e32 v32, v39, v9
	v_fma_f32 v9, v38, v9, -v6
	s_waitcnt lgkmcnt(4)
	v_mul_f32_e32 v6, v41, v12
	v_mul_f32_e32 v33, v41, v13
	v_fma_f32 v13, v40, v13, -v6
	v_mul_f32_e32 v6, v43, v10
	v_fma_f32 v35, v42, v11, -v6
	;; [unrolled: 2-line block ×3, first 2 shown]
	s_waitcnt lgkmcnt(2)
	v_mul_f32_e32 v6, v47, v20
	v_fmac_f32_e32 v32, v38, v8
	v_mul_f32_e32 v38, v47, v21
	v_fma_f32 v21, v46, v21, -v6
	s_waitcnt lgkmcnt(1)
	v_mul_f32_e32 v6, v49, v24
	v_mul_f32_e32 v39, v49, v25
	v_fma_f32 v25, v48, v25, -v6
	v_mul_f32_e32 v6, v51, v22
	v_fma_f32 v41, v50, v23, -v6
	v_mul_f32_e32 v6, v53, v26
	v_mul_f32_e32 v34, v43, v11
	;; [unrolled: 1-line block ×3, first 2 shown]
	v_fma_f32 v43, v52, v27, -v6
	s_waitcnt lgkmcnt(0)
	v_mul_f32_e32 v6, v55, v28
	v_add_f32_e32 v7, v30, v32
	v_fmac_f32_e32 v36, v44, v14
	v_mul_f32_e32 v44, v55, v29
	v_fma_f32 v29, v54, v29, -v6
	v_add_f32_e32 v6, v0, v30
	v_fma_f32 v0, -0.5, v7, v0
	v_sub_f32_e32 v7, v31, v9
	v_mov_b32_e32 v8, v0
	v_fmac_f32_e32 v8, 0xbf5db3d7, v7
	v_fmac_f32_e32 v0, 0x3f5db3d7, v7
	v_add_f32_e32 v7, v1, v31
	v_add_f32_e32 v7, v7, v9
	;; [unrolled: 1-line block ×3, first 2 shown]
	v_fmac_f32_e32 v33, v40, v12
	v_fmac_f32_e32 v34, v42, v10
	v_fma_f32 v1, -0.5, v9, v1
	v_sub_f32_e32 v10, v30, v32
	v_mov_b32_e32 v9, v1
	v_add_f32_e32 v11, v33, v34
	v_fmac_f32_e32 v9, 0x3f5db3d7, v10
	v_fmac_f32_e32 v1, 0xbf5db3d7, v10
	v_add_f32_e32 v10, v2, v33
	v_fma_f32 v2, -0.5, v11, v2
	v_sub_f32_e32 v11, v13, v35
	v_mov_b32_e32 v12, v2
	v_fmac_f32_e32 v12, 0xbf5db3d7, v11
	v_fmac_f32_e32 v2, 0x3f5db3d7, v11
	v_add_f32_e32 v11, v3, v13
	v_add_f32_e32 v13, v13, v35
	v_fmac_f32_e32 v38, v46, v20
	v_fmac_f32_e32 v3, -0.5, v13
	v_sub_f32_e32 v14, v33, v34
	v_mov_b32_e32 v13, v3
	v_add_f32_e32 v15, v36, v38
	v_fmac_f32_e32 v13, 0x3f5db3d7, v14
	v_fmac_f32_e32 v3, 0xbf5db3d7, v14
	v_add_f32_e32 v14, v16, v36
	v_fma_f32 v16, -0.5, v15, v16
	v_sub_f32_e32 v15, v37, v21
	v_mov_b32_e32 v20, v16
	v_fmac_f32_e32 v20, 0xbf5db3d7, v15
	v_fmac_f32_e32 v16, 0x3f5db3d7, v15
	v_add_f32_e32 v15, v17, v37
	v_mul_f32_e32 v40, v51, v23
	v_add_f32_e32 v15, v15, v21
	v_add_f32_e32 v21, v37, v21
	v_fmac_f32_e32 v39, v48, v24
	v_fmac_f32_e32 v40, v50, v22
	v_fma_f32 v17, -0.5, v21, v17
	v_sub_f32_e32 v22, v36, v38
	v_mov_b32_e32 v21, v17
	v_add_f32_e32 v23, v39, v40
	v_fmac_f32_e32 v21, 0x3f5db3d7, v22
	v_fmac_f32_e32 v17, 0xbf5db3d7, v22
	v_add_f32_e32 v22, v18, v39
	v_fma_f32 v18, -0.5, v23, v18
	v_sub_f32_e32 v23, v25, v41
	v_mov_b32_e32 v24, v18
	v_mul_f32_e32 v42, v53, v27
	v_fmac_f32_e32 v24, 0xbf5db3d7, v23
	v_fmac_f32_e32 v18, 0x3f5db3d7, v23
	v_add_f32_e32 v23, v19, v25
	v_add_f32_e32 v25, v25, v41
	v_fmac_f32_e32 v42, v52, v26
	v_fmac_f32_e32 v44, v54, v28
	v_fmac_f32_e32 v19, -0.5, v25
	v_sub_f32_e32 v26, v39, v40
	v_mov_b32_e32 v25, v19
	v_add_f32_e32 v27, v42, v44
	v_fmac_f32_e32 v25, 0x3f5db3d7, v26
	v_fmac_f32_e32 v19, 0xbf5db3d7, v26
	v_add_f32_e32 v26, v4, v42
	v_fma_f32 v4, -0.5, v27, v4
	v_add_f32_e32 v6, v6, v32
	v_add_f32_e32 v10, v10, v34
	;; [unrolled: 1-line block ×3, first 2 shown]
	v_sub_f32_e32 v27, v43, v29
	v_mov_b32_e32 v28, v4
	v_fmac_f32_e32 v28, 0xbf5db3d7, v27
	v_fmac_f32_e32 v4, 0x3f5db3d7, v27
	v_add_f32_e32 v27, v5, v43
	ds_write2_b64 v115, v[6:7], v[10:11] offset1:51
	v_add_u32_e32 v6, 0x400, v115
	v_add_f32_e32 v27, v27, v29
	v_add_f32_e32 v29, v43, v29
	ds_write2_b64 v6, v[8:9], v[12:13] offset0:127 offset1:178
	v_add_u32_e32 v6, 0xc00, v115
	v_add_f32_e32 v14, v14, v38
	v_fmac_f32_e32 v5, -0.5, v29
	ds_write2_b64 v6, v[0:1], v[2:3] offset0:126 offset1:177
	ds_write_b64 v115, v[14:15] offset:816
	v_add_u32_e32 v0, 0x7f8, v95
	v_add_f32_e32 v22, v22, v40
	v_add_f32_e32 v23, v23, v41
	v_sub_f32_e32 v30, v42, v44
	v_mov_b32_e32 v29, v5
	ds_write2_b64 v0, v[20:21], v[16:17] offset1:255
	ds_write_b64 v115, v[22:23] offset:1224
	v_add_u32_e32 v0, 0x7f8, v94
	s_movk_i32 s2, 0x1000
	v_add_f32_e32 v26, v26, v44
	v_fmac_f32_e32 v29, 0x3f5db3d7, v30
	v_fmac_f32_e32 v5, 0xbf5db3d7, v30
	ds_write2_b64 v0, v[24:25], v[18:19] offset1:255
	ds_write_b64 v115, v[26:27] offset:1632
	v_add_u32_e32 v0, 0x7f8, v93
	ds_write2_b64 v0, v[28:29], v[4:5] offset1:255
	s_waitcnt lgkmcnt(0)
	s_barrier
	s_and_b64 exec, exec, s[0:1]
	s_cbranch_execz .LBB0_15
; %bb.14:
	global_load_dwordx2 v[0:1], v103, s[8:9]
	ds_read_b64 v[4:5], v115
	v_mad_u64_u32 v[2:3], s[0:1], s6, v88, 0
	v_mad_u64_u32 v[6:7], s[0:1], s4, v105, 0
	s_waitcnt lgkmcnt(0)
	v_mad_u64_u32 v[8:9], s[6:7], s7, v88, v[3:4]
	s_mov_b32 s0, 0x156ac015
	s_mov_b32 s1, 0x3f556ac0
	v_mad_u64_u32 v[9:10], s[6:7], s5, v105, v[7:8]
	v_mov_b32_e32 v11, s11
	v_lshl_add_u32 v10, v104, 3, v113
	v_mov_b32_e32 v7, v9
	v_lshlrev_b64 v[6:7], 3, v[6:7]
	s_mulk_i32 s5, 0x168
	s_mul_hi_u32 s6, s4, 0x168
	s_mul_i32 s3, s4, 0x168
	s_add_i32 s4, s6, s5
	v_mov_b32_e32 v12, s4
	s_waitcnt vmcnt(0)
	v_mul_f32_e32 v3, v5, v1
	v_mul_f32_e32 v1, v4, v1
	v_fmac_f32_e32 v3, v4, v0
	v_fma_f32 v4, v0, v5, -v1
	v_cvt_f64_f32_e32 v[0:1], v3
	v_cvt_f64_f32_e32 v[4:5], v4
	v_mov_b32_e32 v3, v8
	v_lshlrev_b64 v[2:3], 3, v[2:3]
	v_mul_f64 v[0:1], v[0:1], s[0:1]
	v_mul_f64 v[4:5], v[4:5], s[0:1]
	v_add_co_u32_e32 v2, vcc, s10, v2
	v_addc_co_u32_e32 v3, vcc, v11, v3, vcc
	v_cvt_f32_f64_e32 v0, v[0:1]
	v_cvt_f32_f64_e32 v1, v[4:5]
	v_add_co_u32_e32 v4, vcc, v2, v6
	v_addc_co_u32_e32 v5, vcc, v3, v7, vcc
	global_store_dwordx2 v[4:5], v[0:1], off
	global_load_dwordx2 v[6:7], v103, s[8:9] offset:360
	ds_read2_b64 v[0:3], v10 offset0:45 offset1:90
	v_add_co_u32_e32 v4, vcc, s3, v4
	s_waitcnt vmcnt(0) lgkmcnt(0)
	v_mul_f32_e32 v8, v1, v7
	v_mul_f32_e32 v7, v0, v7
	v_fmac_f32_e32 v8, v0, v6
	v_fma_f32 v6, v6, v1, -v7
	v_cvt_f64_f32_e32 v[0:1], v8
	v_cvt_f64_f32_e32 v[6:7], v6
	v_mov_b32_e32 v8, s4
	v_addc_co_u32_e32 v5, vcc, v5, v8, vcc
	v_mul_f64 v[0:1], v[0:1], s[0:1]
	v_mul_f64 v[6:7], v[6:7], s[0:1]
	v_cvt_f32_f64_e32 v0, v[0:1]
	v_cvt_f32_f64_e32 v1, v[6:7]
	global_store_dwordx2 v[4:5], v[0:1], off
	global_load_dwordx2 v[0:1], v103, s[8:9] offset:720
	v_add_co_u32_e32 v4, vcc, s3, v4
	s_waitcnt vmcnt(0)
	v_mul_f32_e32 v6, v3, v1
	v_mul_f32_e32 v1, v2, v1
	v_fmac_f32_e32 v6, v2, v0
	v_fma_f32 v2, v0, v3, -v1
	v_cvt_f64_f32_e32 v[0:1], v6
	v_cvt_f64_f32_e32 v[2:3], v2
	v_mov_b32_e32 v6, s4
	v_addc_co_u32_e32 v5, vcc, v5, v6, vcc
	v_mul_f64 v[0:1], v[0:1], s[0:1]
	v_mul_f64 v[2:3], v[2:3], s[0:1]
	v_cvt_f32_f64_e32 v0, v[0:1]
	v_cvt_f32_f64_e32 v1, v[2:3]
	global_store_dwordx2 v[4:5], v[0:1], off
	global_load_dwordx2 v[6:7], v103, s[8:9] offset:1080
	ds_read2_b64 v[0:3], v10 offset0:135 offset1:180
	v_add_co_u32_e32 v4, vcc, s3, v4
	s_waitcnt vmcnt(0) lgkmcnt(0)
	v_mul_f32_e32 v8, v1, v7
	v_mul_f32_e32 v7, v0, v7
	v_fmac_f32_e32 v8, v0, v6
	v_fma_f32 v6, v6, v1, -v7
	v_cvt_f64_f32_e32 v[0:1], v8
	v_cvt_f64_f32_e32 v[6:7], v6
	v_mov_b32_e32 v8, s4
	v_addc_co_u32_e32 v5, vcc, v5, v8, vcc
	v_mul_f64 v[0:1], v[0:1], s[0:1]
	v_mul_f64 v[6:7], v[6:7], s[0:1]
	v_cvt_f32_f64_e32 v0, v[0:1]
	v_cvt_f32_f64_e32 v1, v[6:7]
	global_store_dwordx2 v[4:5], v[0:1], off
	global_load_dwordx2 v[0:1], v103, s[8:9] offset:1440
	v_add_co_u32_e32 v4, vcc, s3, v4
	s_waitcnt vmcnt(0)
	v_mul_f32_e32 v6, v3, v1
	v_mul_f32_e32 v1, v2, v1
	v_fmac_f32_e32 v6, v2, v0
	v_fma_f32 v2, v0, v3, -v1
	v_cvt_f64_f32_e32 v[0:1], v6
	v_cvt_f64_f32_e32 v[2:3], v2
	v_mov_b32_e32 v6, s4
	v_addc_co_u32_e32 v5, vcc, v5, v6, vcc
	v_mul_f64 v[0:1], v[0:1], s[0:1]
	v_mul_f64 v[2:3], v[2:3], s[0:1]
	v_cvt_f32_f64_e32 v0, v[0:1]
	v_cvt_f32_f64_e32 v1, v[2:3]
	global_store_dwordx2 v[4:5], v[0:1], off
	global_load_dwordx2 v[6:7], v103, s[8:9] offset:1800
	v_add_u32_e32 v0, 0x400, v10
	ds_read2_b64 v[0:3], v0 offset0:97 offset1:142
	v_add_co_u32_e32 v4, vcc, s3, v4
	s_waitcnt vmcnt(0) lgkmcnt(0)
	v_mul_f32_e32 v8, v1, v7
	v_mul_f32_e32 v7, v0, v7
	v_fmac_f32_e32 v8, v0, v6
	v_fma_f32 v6, v6, v1, -v7
	v_cvt_f64_f32_e32 v[0:1], v8
	v_cvt_f64_f32_e32 v[6:7], v6
	v_mov_b32_e32 v8, s4
	v_addc_co_u32_e32 v5, vcc, v5, v8, vcc
	v_mul_f64 v[0:1], v[0:1], s[0:1]
	v_mul_f64 v[6:7], v[6:7], s[0:1]
	v_add_u32_e32 v8, 0x800, v10
	v_cvt_f32_f64_e32 v0, v[0:1]
	v_cvt_f32_f64_e32 v1, v[6:7]
	global_store_dwordx2 v[4:5], v[0:1], off
	global_load_dwordx2 v[0:1], v103, s[8:9] offset:2160
	v_add_co_u32_e32 v4, vcc, s3, v4
	s_waitcnt vmcnt(0)
	v_mul_f32_e32 v6, v3, v1
	v_mul_f32_e32 v1, v2, v1
	v_fmac_f32_e32 v6, v2, v0
	v_fma_f32 v2, v0, v3, -v1
	v_cvt_f64_f32_e32 v[0:1], v6
	v_cvt_f64_f32_e32 v[2:3], v2
	v_mov_b32_e32 v6, s4
	v_addc_co_u32_e32 v5, vcc, v5, v6, vcc
	v_mul_f64 v[0:1], v[0:1], s[0:1]
	v_mul_f64 v[2:3], v[2:3], s[0:1]
	v_cvt_f32_f64_e32 v0, v[0:1]
	v_cvt_f32_f64_e32 v1, v[2:3]
	global_store_dwordx2 v[4:5], v[0:1], off
	global_load_dwordx2 v[6:7], v103, s[8:9] offset:2520
	ds_read2_b64 v[0:3], v8 offset0:59 offset1:104
	v_add_co_u32_e32 v4, vcc, s3, v4
	s_waitcnt vmcnt(0) lgkmcnt(0)
	v_mul_f32_e32 v9, v1, v7
	v_mul_f32_e32 v7, v0, v7
	v_fmac_f32_e32 v9, v0, v6
	v_fma_f32 v6, v6, v1, -v7
	v_cvt_f64_f32_e32 v[0:1], v9
	v_cvt_f64_f32_e32 v[6:7], v6
	v_mov_b32_e32 v9, s4
	v_addc_co_u32_e32 v5, vcc, v5, v9, vcc
	v_mul_f64 v[0:1], v[0:1], s[0:1]
	v_mul_f64 v[6:7], v[6:7], s[0:1]
	v_cvt_f32_f64_e32 v0, v[0:1]
	v_cvt_f32_f64_e32 v1, v[6:7]
	global_store_dwordx2 v[4:5], v[0:1], off
	global_load_dwordx2 v[0:1], v103, s[8:9] offset:2880
	v_add_co_u32_e32 v4, vcc, s3, v4
	s_waitcnt vmcnt(0)
	v_mul_f32_e32 v6, v3, v1
	v_mul_f32_e32 v1, v2, v1
	v_fmac_f32_e32 v6, v2, v0
	v_fma_f32 v2, v0, v3, -v1
	v_cvt_f64_f32_e32 v[0:1], v6
	v_cvt_f64_f32_e32 v[2:3], v2
	v_mov_b32_e32 v6, s4
	v_addc_co_u32_e32 v5, vcc, v5, v6, vcc
	v_mul_f64 v[0:1], v[0:1], s[0:1]
	v_mul_f64 v[2:3], v[2:3], s[0:1]
	v_cvt_f32_f64_e32 v0, v[0:1]
	v_cvt_f32_f64_e32 v1, v[2:3]
	global_store_dwordx2 v[4:5], v[0:1], off
	global_load_dwordx2 v[6:7], v103, s[8:9] offset:3240
	ds_read2_b64 v[0:3], v8 offset0:149 offset1:194
	v_add_co_u32_e32 v4, vcc, s3, v4
	s_waitcnt vmcnt(0) lgkmcnt(0)
	v_mul_f32_e32 v8, v1, v7
	v_mul_f32_e32 v7, v0, v7
	v_fmac_f32_e32 v8, v0, v6
	v_fma_f32 v6, v6, v1, -v7
	v_cvt_f64_f32_e32 v[0:1], v8
	v_cvt_f64_f32_e32 v[6:7], v6
	v_mov_b32_e32 v8, s4
	v_addc_co_u32_e32 v5, vcc, v5, v8, vcc
	v_mul_f64 v[0:1], v[0:1], s[0:1]
	v_mul_f64 v[6:7], v[6:7], s[0:1]
	v_cvt_f32_f64_e32 v0, v[0:1]
	v_cvt_f32_f64_e32 v1, v[6:7]
	global_store_dwordx2 v[4:5], v[0:1], off
	global_load_dwordx2 v[0:1], v103, s[8:9] offset:3600
	v_add_co_u32_e32 v4, vcc, s3, v4
	s_waitcnt vmcnt(0)
	v_mul_f32_e32 v6, v3, v1
	v_mul_f32_e32 v1, v2, v1
	v_fmac_f32_e32 v6, v2, v0
	v_fma_f32 v2, v0, v3, -v1
	v_cvt_f64_f32_e32 v[0:1], v6
	v_cvt_f64_f32_e32 v[2:3], v2
	v_mov_b32_e32 v6, s4
	v_addc_co_u32_e32 v5, vcc, v5, v6, vcc
	v_mul_f64 v[0:1], v[0:1], s[0:1]
	v_mul_f64 v[2:3], v[2:3], s[0:1]
	v_add_co_u32_e32 v9, vcc, s8, v103
	v_cvt_f32_f64_e32 v0, v[0:1]
	v_cvt_f32_f64_e32 v1, v[2:3]
	global_store_dwordx2 v[4:5], v[0:1], off
	global_load_dwordx2 v[6:7], v103, s[8:9] offset:3960
	v_add_u32_e32 v0, 0xc00, v10
	ds_read2_b64 v[0:3], v0 offset0:111 offset1:156
	v_add_u32_e32 v10, 0x1000, v10
	s_waitcnt vmcnt(0) lgkmcnt(0)
	v_mul_f32_e32 v8, v1, v7
	v_mul_f32_e32 v7, v0, v7
	v_fmac_f32_e32 v8, v0, v6
	v_fma_f32 v6, v6, v1, -v7
	v_cvt_f64_f32_e32 v[0:1], v8
	v_cvt_f64_f32_e32 v[6:7], v6
	v_mov_b32_e32 v8, s9
	v_addc_co_u32_e32 v11, vcc, 0, v8, vcc
	v_mul_f64 v[0:1], v[0:1], s[0:1]
	v_mul_f64 v[6:7], v[6:7], s[0:1]
	v_add_co_u32_e32 v8, vcc, s2, v9
	v_addc_co_u32_e32 v9, vcc, 0, v11, vcc
	v_add_co_u32_e32 v4, vcc, s3, v4
	v_cvt_f32_f64_e32 v0, v[0:1]
	v_cvt_f32_f64_e32 v1, v[6:7]
	v_addc_co_u32_e32 v5, vcc, v5, v12, vcc
	global_store_dwordx2 v[4:5], v[0:1], off
	global_load_dwordx2 v[0:1], v[8:9], off offset:224
	v_add_co_u32_e32 v4, vcc, s3, v4
	s_waitcnt vmcnt(0)
	v_mul_f32_e32 v6, v3, v1
	v_mul_f32_e32 v1, v2, v1
	v_fmac_f32_e32 v6, v2, v0
	v_fma_f32 v2, v0, v3, -v1
	v_cvt_f64_f32_e32 v[0:1], v6
	v_cvt_f64_f32_e32 v[2:3], v2
	v_mov_b32_e32 v6, s4
	v_addc_co_u32_e32 v5, vcc, v5, v6, vcc
	v_mul_f64 v[0:1], v[0:1], s[0:1]
	v_mul_f64 v[2:3], v[2:3], s[0:1]
	v_cvt_f32_f64_e32 v0, v[0:1]
	v_cvt_f32_f64_e32 v1, v[2:3]
	global_store_dwordx2 v[4:5], v[0:1], off
	global_load_dwordx2 v[6:7], v[8:9], off offset:584
	ds_read2_b64 v[0:3], v10 offset0:73 offset1:118
	v_add_co_u32_e32 v4, vcc, s3, v4
	s_waitcnt vmcnt(0) lgkmcnt(0)
	v_mul_f32_e32 v11, v1, v7
	v_mul_f32_e32 v7, v0, v7
	v_fmac_f32_e32 v11, v0, v6
	v_fma_f32 v6, v6, v1, -v7
	v_cvt_f64_f32_e32 v[0:1], v11
	v_cvt_f64_f32_e32 v[6:7], v6
	v_mov_b32_e32 v11, s4
	v_addc_co_u32_e32 v5, vcc, v5, v11, vcc
	v_mul_f64 v[0:1], v[0:1], s[0:1]
	v_mul_f64 v[6:7], v[6:7], s[0:1]
	v_cvt_f32_f64_e32 v0, v[0:1]
	v_cvt_f32_f64_e32 v1, v[6:7]
	global_store_dwordx2 v[4:5], v[0:1], off
	global_load_dwordx2 v[0:1], v[8:9], off offset:944
	v_add_co_u32_e32 v4, vcc, s3, v4
	s_waitcnt vmcnt(0)
	v_mul_f32_e32 v6, v3, v1
	v_mul_f32_e32 v1, v2, v1
	v_fmac_f32_e32 v6, v2, v0
	v_fma_f32 v2, v0, v3, -v1
	v_cvt_f64_f32_e32 v[0:1], v6
	v_cvt_f64_f32_e32 v[2:3], v2
	v_mov_b32_e32 v6, s4
	v_addc_co_u32_e32 v5, vcc, v5, v6, vcc
	v_mul_f64 v[0:1], v[0:1], s[0:1]
	v_mul_f64 v[2:3], v[2:3], s[0:1]
	v_cvt_f32_f64_e32 v0, v[0:1]
	v_cvt_f32_f64_e32 v1, v[2:3]
	global_store_dwordx2 v[4:5], v[0:1], off
	global_load_dwordx2 v[6:7], v[8:9], off offset:1304
	ds_read2_b64 v[0:3], v10 offset0:163 offset1:208
	v_add_co_u32_e32 v4, vcc, s3, v4
	s_waitcnt vmcnt(0) lgkmcnt(0)
	v_mul_f32_e32 v10, v1, v7
	v_mul_f32_e32 v7, v0, v7
	v_fmac_f32_e32 v10, v0, v6
	v_fma_f32 v6, v6, v1, -v7
	v_cvt_f64_f32_e32 v[0:1], v10
	v_cvt_f64_f32_e32 v[6:7], v6
	v_mov_b32_e32 v10, s4
	v_addc_co_u32_e32 v5, vcc, v5, v10, vcc
	v_mul_f64 v[0:1], v[0:1], s[0:1]
	v_mul_f64 v[6:7], v[6:7], s[0:1]
	v_cvt_f32_f64_e32 v0, v[0:1]
	v_cvt_f32_f64_e32 v1, v[6:7]
	global_store_dwordx2 v[4:5], v[0:1], off
	global_load_dwordx2 v[0:1], v[8:9], off offset:1664
	s_waitcnt vmcnt(0)
	v_mul_f32_e32 v6, v3, v1
	v_mul_f32_e32 v1, v2, v1
	v_fmac_f32_e32 v6, v2, v0
	v_fma_f32 v2, v0, v3, -v1
	v_cvt_f64_f32_e32 v[0:1], v6
	v_cvt_f64_f32_e32 v[2:3], v2
	v_mov_b32_e32 v6, s4
	v_mul_f64 v[0:1], v[0:1], s[0:1]
	v_mul_f64 v[2:3], v[2:3], s[0:1]
	v_cvt_f32_f64_e32 v0, v[0:1]
	v_cvt_f32_f64_e32 v1, v[2:3]
	v_add_co_u32_e32 v2, vcc, s3, v4
	v_addc_co_u32_e32 v3, vcc, v5, v6, vcc
	global_store_dwordx2 v[2:3], v[0:1], off
.LBB0_15:
	s_endpgm
	.section	.rodata,"a",@progbits
	.p2align	6, 0x0
	.amdhsa_kernel bluestein_single_back_len765_dim1_sp_op_CI_CI
		.amdhsa_group_segment_fixed_size 30600
		.amdhsa_private_segment_fixed_size 52
		.amdhsa_kernarg_size 104
		.amdhsa_user_sgpr_count 6
		.amdhsa_user_sgpr_private_segment_buffer 1
		.amdhsa_user_sgpr_dispatch_ptr 0
		.amdhsa_user_sgpr_queue_ptr 0
		.amdhsa_user_sgpr_kernarg_segment_ptr 1
		.amdhsa_user_sgpr_dispatch_id 0
		.amdhsa_user_sgpr_flat_scratch_init 0
		.amdhsa_user_sgpr_private_segment_size 0
		.amdhsa_uses_dynamic_stack 0
		.amdhsa_system_sgpr_private_segment_wavefront_offset 1
		.amdhsa_system_sgpr_workgroup_id_x 1
		.amdhsa_system_sgpr_workgroup_id_y 0
		.amdhsa_system_sgpr_workgroup_id_z 0
		.amdhsa_system_sgpr_workgroup_info 0
		.amdhsa_system_vgpr_workitem_id 0
		.amdhsa_next_free_vgpr 256
		.amdhsa_next_free_sgpr 24
		.amdhsa_reserve_vcc 1
		.amdhsa_reserve_flat_scratch 0
		.amdhsa_float_round_mode_32 0
		.amdhsa_float_round_mode_16_64 0
		.amdhsa_float_denorm_mode_32 3
		.amdhsa_float_denorm_mode_16_64 3
		.amdhsa_dx10_clamp 1
		.amdhsa_ieee_mode 1
		.amdhsa_fp16_overflow 0
		.amdhsa_exception_fp_ieee_invalid_op 0
		.amdhsa_exception_fp_denorm_src 0
		.amdhsa_exception_fp_ieee_div_zero 0
		.amdhsa_exception_fp_ieee_overflow 0
		.amdhsa_exception_fp_ieee_underflow 0
		.amdhsa_exception_fp_ieee_inexact 0
		.amdhsa_exception_int_div_zero 0
	.end_amdhsa_kernel
	.text
.Lfunc_end0:
	.size	bluestein_single_back_len765_dim1_sp_op_CI_CI, .Lfunc_end0-bluestein_single_back_len765_dim1_sp_op_CI_CI
                                        ; -- End function
	.section	.AMDGPU.csdata,"",@progbits
; Kernel info:
; codeLenInByte = 20988
; NumSgprs: 28
; NumVgprs: 256
; ScratchSize: 52
; MemoryBound: 0
; FloatMode: 240
; IeeeMode: 1
; LDSByteSize: 30600 bytes/workgroup (compile time only)
; SGPRBlocks: 3
; VGPRBlocks: 63
; NumSGPRsForWavesPerEU: 28
; NumVGPRsForWavesPerEU: 256
; Occupancy: 1
; WaveLimiterHint : 1
; COMPUTE_PGM_RSRC2:SCRATCH_EN: 1
; COMPUTE_PGM_RSRC2:USER_SGPR: 6
; COMPUTE_PGM_RSRC2:TRAP_HANDLER: 0
; COMPUTE_PGM_RSRC2:TGID_X_EN: 1
; COMPUTE_PGM_RSRC2:TGID_Y_EN: 0
; COMPUTE_PGM_RSRC2:TGID_Z_EN: 0
; COMPUTE_PGM_RSRC2:TIDIG_COMP_CNT: 0
	.type	__hip_cuid_1b0347520694e350,@object ; @__hip_cuid_1b0347520694e350
	.section	.bss,"aw",@nobits
	.globl	__hip_cuid_1b0347520694e350
__hip_cuid_1b0347520694e350:
	.byte	0                               ; 0x0
	.size	__hip_cuid_1b0347520694e350, 1

	.ident	"AMD clang version 19.0.0git (https://github.com/RadeonOpenCompute/llvm-project roc-6.4.0 25133 c7fe45cf4b819c5991fe208aaa96edf142730f1d)"
	.section	".note.GNU-stack","",@progbits
	.addrsig
	.addrsig_sym __hip_cuid_1b0347520694e350
	.amdgpu_metadata
---
amdhsa.kernels:
  - .args:
      - .actual_access:  read_only
        .address_space:  global
        .offset:         0
        .size:           8
        .value_kind:     global_buffer
      - .actual_access:  read_only
        .address_space:  global
        .offset:         8
        .size:           8
        .value_kind:     global_buffer
      - .actual_access:  read_only
        .address_space:  global
        .offset:         16
        .size:           8
        .value_kind:     global_buffer
      - .actual_access:  read_only
        .address_space:  global
        .offset:         24
        .size:           8
        .value_kind:     global_buffer
      - .actual_access:  read_only
        .address_space:  global
        .offset:         32
        .size:           8
        .value_kind:     global_buffer
      - .offset:         40
        .size:           8
        .value_kind:     by_value
      - .address_space:  global
        .offset:         48
        .size:           8
        .value_kind:     global_buffer
      - .address_space:  global
        .offset:         56
        .size:           8
        .value_kind:     global_buffer
      - .address_space:  global
        .offset:         64
        .size:           8
        .value_kind:     global_buffer
      - .address_space:  global
        .offset:         72
        .size:           8
        .value_kind:     global_buffer
      - .offset:         80
        .size:           4
        .value_kind:     by_value
      - .address_space:  global
        .offset:         88
        .size:           8
        .value_kind:     global_buffer
      - .address_space:  global
        .offset:         96
        .size:           8
        .value_kind:     global_buffer
    .group_segment_fixed_size: 30600
    .kernarg_segment_align: 8
    .kernarg_segment_size: 104
    .language:       OpenCL C
    .language_version:
      - 2
      - 0
    .max_flat_workgroup_size: 255
    .name:           bluestein_single_back_len765_dim1_sp_op_CI_CI
    .private_segment_fixed_size: 52
    .sgpr_count:     28
    .sgpr_spill_count: 0
    .symbol:         bluestein_single_back_len765_dim1_sp_op_CI_CI.kd
    .uniform_work_group_size: 1
    .uses_dynamic_stack: false
    .vgpr_count:     256
    .vgpr_spill_count: 12
    .wavefront_size: 64
amdhsa.target:   amdgcn-amd-amdhsa--gfx906
amdhsa.version:
  - 1
  - 2
...

	.end_amdgpu_metadata
